;; amdgpu-corpus repo=ROCm/rocFFT kind=compiled arch=gfx1201 opt=O3
	.text
	.amdgcn_target "amdgcn-amd-amdhsa--gfx1201"
	.amdhsa_code_object_version 6
	.protected	bluestein_single_back_len154_dim1_sp_op_CI_CI ; -- Begin function bluestein_single_back_len154_dim1_sp_op_CI_CI
	.globl	bluestein_single_back_len154_dim1_sp_op_CI_CI
	.p2align	8
	.type	bluestein_single_back_len154_dim1_sp_op_CI_CI,@function
bluestein_single_back_len154_dim1_sp_op_CI_CI: ; @bluestein_single_back_len154_dim1_sp_op_CI_CI
; %bb.0:
	s_load_b128 s[8:11], s[0:1], 0x28
	v_mul_u32_u24_e32 v1, 0xba3, v0
	s_mov_b32 s2, exec_lo
	s_delay_alu instid0(VALU_DEP_1) | instskip(NEXT) | instid1(VALU_DEP_1)
	v_lshrrev_b32_e32 v1, 16, v1
	v_mad_co_u64_u32 v[35:36], null, ttmp9, 5, v[1:2]
	v_mov_b32_e32 v36, 0
	s_wait_kmcnt 0x0
	s_delay_alu instid0(VALU_DEP_1)
	v_cmpx_gt_u64_e64 s[8:9], v[35:36]
	s_cbranch_execz .LBB0_23
; %bb.1:
	v_mul_hi_u32 v2, 0xcccccccd, v35
	v_mul_lo_u16 v1, v1, 22
	s_clause 0x1
	s_load_b64 s[12:13], s[0:1], 0x0
	s_load_b64 s[8:9], s[0:1], 0x38
	s_delay_alu instid0(VALU_DEP_1) | instskip(NEXT) | instid1(VALU_DEP_3)
	v_sub_nc_u16 v0, v0, v1
	v_lshrrev_b32_e32 v2, 2, v2
	s_delay_alu instid0(VALU_DEP_2) | instskip(SKIP_1) | instid1(VALU_DEP_3)
	v_and_b32_e32 v48, 0xffff, v0
	v_cmp_gt_u16_e32 vcc_lo, 14, v0
	v_lshl_add_u32 v2, v2, 2, v2
	s_delay_alu instid0(VALU_DEP_3) | instskip(SKIP_1) | instid1(VALU_DEP_3)
	v_lshlrev_b32_e32 v49, 3, v48
	v_or_b32_e32 v46, 0x70, v48
	v_sub_nc_u32_e32 v1, v35, v2
	s_delay_alu instid0(VALU_DEP_1) | instskip(NEXT) | instid1(VALU_DEP_1)
	v_mul_u32_u24_e32 v47, 0x9a, v1
	v_lshlrev_b32_e32 v50, 3, v47
	s_and_saveexec_b32 s3, vcc_lo
	s_cbranch_execz .LBB0_3
; %bb.2:
	s_load_b64 s[4:5], s[0:1], 0x18
	s_delay_alu instid0(VALU_DEP_1)
	v_lshl_add_u32 v53, v48, 3, v50
	s_wait_kmcnt 0x0
	global_load_b64 v[11:12], v49, s[12:13] offset:896
	v_add_nc_u32_e32 v54, v50, v49
	s_load_b128 s[4:7], s[4:5], 0x0
	s_wait_kmcnt 0x0
	v_mad_co_u64_u32 v[0:1], null, s6, v35, 0
	v_mad_co_u64_u32 v[2:3], null, s4, v48, 0
	s_delay_alu instid0(VALU_DEP_1) | instskip(SKIP_1) | instid1(VALU_DEP_1)
	v_mad_co_u64_u32 v[4:5], null, s7, v35, v[1:2]
	s_mul_u64 s[6:7], s[4:5], 0x70
	v_mad_co_u64_u32 v[5:6], null, s5, v48, v[3:4]
	global_load_b64 v[6:7], v49, s[12:13]
	v_mov_b32_e32 v1, v4
	v_mov_b32_e32 v3, v5
	s_delay_alu instid0(VALU_DEP_2) | instskip(SKIP_1) | instid1(VALU_DEP_3)
	v_lshlrev_b64_e32 v[0:1], 3, v[0:1]
	v_mad_co_u64_u32 v[4:5], null, s4, v46, 0
	v_lshlrev_b64_e32 v[2:3], 3, v[2:3]
	s_delay_alu instid0(VALU_DEP_3) | instskip(NEXT) | instid1(VALU_DEP_1)
	v_add_co_u32 v19, s2, s10, v0
	v_add_co_ci_u32_e64 v20, s2, s11, v1, s2
	s_delay_alu instid0(VALU_DEP_4) | instskip(NEXT) | instid1(VALU_DEP_3)
	v_mov_b32_e32 v0, v5
	v_add_co_u32 v1, s2, v19, v2
	s_wait_alu 0xf1ff
	s_delay_alu instid0(VALU_DEP_3) | instskip(NEXT) | instid1(VALU_DEP_2)
	v_add_co_ci_u32_e64 v2, s2, v20, v3, s2
	v_mad_co_u64_u32 v[8:9], null, s5, v46, v[0:1]
	s_wait_alu 0xfffe
	v_add_co_u32 v9, s2, v1, s6
	s_wait_alu 0xf1ff
	v_add_co_ci_u32_e64 v10, s2, s7, v2, s2
	global_load_b64 v[0:1], v[1:2], off
	v_add_co_u32 v13, s2, v9, s6
	s_wait_alu 0xf1ff
	v_add_co_ci_u32_e64 v14, s2, s7, v10, s2
	v_mov_b32_e32 v5, v8
	s_delay_alu instid0(VALU_DEP_3) | instskip(SKIP_1) | instid1(VALU_DEP_3)
	v_add_co_u32 v15, s2, v13, s6
	s_wait_alu 0xf1ff
	v_add_co_ci_u32_e64 v16, s2, s7, v14, s2
	s_delay_alu instid0(VALU_DEP_3) | instskip(NEXT) | instid1(VALU_DEP_3)
	v_lshlrev_b64_e32 v[3:4], 3, v[4:5]
	v_add_co_u32 v17, s2, v15, s6
	s_wait_alu 0xf1ff
	s_delay_alu instid0(VALU_DEP_3) | instskip(NEXT) | instid1(VALU_DEP_3)
	v_add_co_ci_u32_e64 v18, s2, s7, v16, s2
	v_add_co_u32 v3, s2, v19, v3
	s_wait_alu 0xf1ff
	v_add_co_ci_u32_e64 v4, s2, v20, v4, s2
	v_add_co_u32 v19, s2, v17, s6
	s_wait_alu 0xf1ff
	v_add_co_ci_u32_e64 v20, s2, s7, v18, s2
	global_load_b64 v[2:3], v[3:4], off
	v_add_co_u32 v21, s2, v19, s6
	s_wait_alu 0xf1ff
	v_add_co_ci_u32_e64 v22, s2, s7, v20, s2
	global_load_b64 v[23:24], v49, s[12:13] offset:112
	global_load_b64 v[8:9], v[9:10], off
	v_add_co_u32 v4, s2, v21, s6
	s_wait_alu 0xf1ff
	v_add_co_ci_u32_e64 v5, s2, s7, v22, s2
	global_load_b64 v[13:14], v[13:14], off
	s_clause 0x1
	global_load_b64 v[27:28], v49, s[12:13] offset:224
	global_load_b64 v[29:30], v49, s[12:13] offset:336
	s_clause 0x1
	global_load_b64 v[15:16], v[15:16], off
	global_load_b64 v[17:18], v[17:18], off
	global_load_b64 v[31:32], v49, s[12:13] offset:448
	global_load_b64 v[19:20], v[19:20], off
	s_clause 0x2
	global_load_b64 v[36:37], v49, s[12:13] offset:560
	global_load_b64 v[38:39], v49, s[12:13] offset:672
	;; [unrolled: 1-line block ×3, first 2 shown]
	global_load_b64 v[21:22], v[21:22], off
	v_mad_co_u64_u32 v[25:26], null, 0xe0, s4, v[4:5]
	global_load_b64 v[4:5], v[4:5], off
	v_mov_b32_e32 v10, v26
	s_wait_loadcnt 0x11
	s_delay_alu instid0(VALU_DEP_1) | instskip(NEXT) | instid1(VALU_DEP_1)
	v_mad_co_u64_u32 v[33:34], null, 0xe0, s5, v[10:11]
	v_mov_b32_e32 v26, v33
	v_add_co_u32 v33, s2, v25, s6
	s_wait_alu 0xf1ff
	s_delay_alu instid0(VALU_DEP_2)
	v_add_co_ci_u32_e64 v34, s2, s7, v26, s2
	global_load_b64 v[25:26], v[25:26], off
	s_clause 0x1
	global_load_b64 v[42:43], v49, s[12:13] offset:1008
	global_load_b64 v[44:45], v49, s[12:13] offset:1120
	global_load_b64 v[33:34], v[33:34], off
	s_wait_loadcnt 0x13
	v_mul_f32_e32 v51, v1, v7
	v_mul_f32_e32 v7, v0, v7
	s_wait_loadcnt 0x12
	s_delay_alu instid0(VALU_DEP_2) | instskip(SKIP_1) | instid1(VALU_DEP_3)
	v_dual_fmac_f32 v51, v0, v6 :: v_dual_mul_f32 v10, v3, v12
	v_mul_f32_e32 v12, v2, v12
	v_fma_f32 v52, v1, v6, -v7
	s_wait_loadcnt 0x10
	v_mul_f32_e32 v0, v9, v24
	v_dual_mul_f32 v1, v8, v24 :: v_dual_fmac_f32 v10, v2, v11
	v_fma_f32 v11, v3, v11, -v12
	s_wait_loadcnt 0xc
	v_dual_mul_f32 v2, v14, v28 :: v_dual_mul_f32 v7, v15, v30
	v_dual_fmac_f32 v0, v8, v23 :: v_dual_mul_f32 v3, v13, v28
	v_mul_f32_e32 v6, v16, v30
	s_wait_loadcnt 0xa
	v_mul_f32_e32 v8, v18, v32
	v_fma_f32 v1, v9, v23, -v1
	v_fmac_f32_e32 v2, v13, v27
	v_mul_f32_e32 v9, v17, v32
	v_fma_f32 v7, v16, v29, -v7
	s_wait_loadcnt 0x8
	v_mul_f32_e32 v12, v20, v37
	v_mul_f32_e32 v13, v19, v37
	s_wait_loadcnt 0x4
	v_mul_f32_e32 v16, v5, v41
	v_fma_f32 v3, v14, v27, -v3
	v_fmac_f32_e32 v6, v15, v29
	v_mul_f32_e32 v14, v22, v39
	v_mul_f32_e32 v15, v21, v39
	v_dual_fmac_f32 v8, v17, v31 :: v_dual_mul_f32 v17, v4, v41
	v_fma_f32 v9, v18, v31, -v9
	v_fmac_f32_e32 v12, v19, v36
	v_fma_f32 v13, v20, v36, -v13
	v_fmac_f32_e32 v16, v4, v40
	v_fmac_f32_e32 v14, v21, v38
	v_fma_f32 v15, v22, v38, -v15
	v_fma_f32 v17, v5, v40, -v17
	ds_store_b64 v53, v[51:52]
	s_wait_loadcnt 0x2
	v_mul_f32_e32 v19, v25, v43
	v_mul_f32_e32 v4, v26, v43
	s_wait_loadcnt 0x0
	v_mul_f32_e32 v18, v34, v45
	v_mul_f32_e32 v20, v33, v45
	v_fma_f32 v5, v26, v42, -v19
	v_fmac_f32_e32 v4, v25, v42
	s_delay_alu instid0(VALU_DEP_4) | instskip(NEXT) | instid1(VALU_DEP_4)
	v_fmac_f32_e32 v18, v33, v44
	v_fma_f32 v19, v34, v44, -v20
	ds_store_2addr_b64 v54, v[0:1], v[2:3] offset0:14 offset1:28
	ds_store_2addr_b64 v54, v[6:7], v[8:9] offset0:42 offset1:56
	;; [unrolled: 1-line block ×5, first 2 shown]
.LBB0_3:
	s_or_b32 exec_lo, exec_lo, s3
	s_clause 0x1
	s_load_b64 s[4:5], s[0:1], 0x20
	s_load_b64 s[2:3], s[0:1], 0x8
	v_mov_b32_e32 v4, 0
	v_mov_b32_e32 v5, 0
	global_wb scope:SCOPE_SE
	s_wait_dscnt 0x0
	s_wait_kmcnt 0x0
	s_barrier_signal -1
	s_barrier_wait -1
	global_inv scope:SCOPE_SE
                                        ; implicit-def: $vgpr14
                                        ; implicit-def: $vgpr8
                                        ; implicit-def: $vgpr20
                                        ; implicit-def: $vgpr18
                                        ; implicit-def: $vgpr26
	s_and_saveexec_b32 s0, vcc_lo
	s_cbranch_execz .LBB0_5
; %bb.4:
	v_lshl_add_u32 v0, v47, 3, v49
	ds_load_2addr_b64 v[4:7], v0 offset1:14
	ds_load_2addr_b64 v[24:27], v0 offset0:28 offset1:42
	ds_load_2addr_b64 v[16:19], v0 offset0:56 offset1:70
	ds_load_2addr_b64 v[12:15], v0 offset0:84 offset1:98
	ds_load_2addr_b64 v[8:11], v0 offset0:112 offset1:126
	ds_load_b64 v[20:21], v0 offset:1120
.LBB0_5:
	s_wait_alu 0xfffe
	s_or_b32 exec_lo, exec_lo, s0
	s_wait_dscnt 0x0
	v_add_f32_e32 v53, v20, v6
	v_sub_f32_e32 v63, v7, v21
	v_sub_f32_e32 v61, v6, v20
	global_wb scope:SCOPE_SE
	s_barrier_signal -1
	v_dual_add_f32 v65, v10, v24 :: v_dual_mul_f32 v28, 0xbf0a6770, v63
	v_mul_f32_e32 v54, 0xbf4178ce, v61
	s_barrier_wait -1
	global_inv scope:SCOPE_SE
	v_mul_f32_e32 v41, 0xbf7d64f0, v61
	v_fmamk_f32 v0, v53, 0x3f575c64, v28
	v_add_f32_e32 v69, v21, v7
	v_mul_f32_e32 v38, 0xbf7d64f0, v63
	v_dual_mul_f32 v32, 0xbf68dda4, v63 :: v_dual_add_f32 v77, v11, v25
	s_delay_alu instid0(VALU_DEP_4) | instskip(NEXT) | instid1(VALU_DEP_4)
	v_add_f32_e32 v0, v0, v4
	v_fma_f32 v23, 0xbe11bafb, v69, -v41
	s_delay_alu instid0(VALU_DEP_4)
	v_fmamk_f32 v22, v53, 0xbe11bafb, v38
	v_fma_f32 v34, 0xbf27a4f4, v69, -v54
	v_sub_f32_e32 v74, v25, v11
	v_add_f32_e32 v79, v9, v27
	v_add_f32_e32 v23, v23, v5
	v_dual_mul_f32 v33, 0xbf68dda4, v61 :: v_dual_add_f32 v22, v22, v4
	s_delay_alu instid0(VALU_DEP_4) | instskip(SKIP_1) | instid1(VALU_DEP_3)
	v_dual_add_f32 v37, v34, v5 :: v_dual_mul_f32 v30, 0xbf68dda4, v74
	v_sub_f32_e32 v83, v27, v9
	v_fma_f32 v3, 0x3ed4b147, v69, -v33
	v_fmamk_f32 v2, v53, 0x3ed4b147, v32
	v_mul_f32_e32 v66, 0x3f7d64f0, v74
	v_fmamk_f32 v34, v65, 0x3ed4b147, v30
	s_delay_alu instid0(VALU_DEP_4) | instskip(NEXT) | instid1(VALU_DEP_4)
	v_dual_mul_f32 v44, 0xbf4178ce, v63 :: v_dual_add_f32 v3, v3, v5
	v_dual_mul_f32 v29, 0xbf0a6770, v61 :: v_dual_add_f32 v2, v2, v4
	s_delay_alu instid0(VALU_DEP_2) | instskip(SKIP_1) | instid1(VALU_DEP_3)
	v_dual_sub_f32 v72, v24, v10 :: v_dual_fmamk_f32 v31, v53, 0xbf27a4f4, v44
	v_mul_f32_e32 v43, 0x3e903f40, v74
	v_fma_f32 v1, 0x3f575c64, v69, -v29
	s_delay_alu instid0(VALU_DEP_3) | instskip(NEXT) | instid1(VALU_DEP_4)
	v_dual_add_f32 v75, v8, v26 :: v_dual_mul_f32 v42, 0xbf4178ce, v72
	v_add_f32_e32 v36, v31, v4
	s_delay_alu instid0(VALU_DEP_3)
	v_dual_mul_f32 v56, 0x3e903f40, v72 :: v_dual_add_f32 v1, v1, v5
	v_mul_f32_e32 v40, 0xbf4178ce, v74
	v_add_f32_e32 v0, v34, v0
	v_fma_f32 v45, 0xbf27a4f4, v77, -v42
	v_sub_f32_e32 v81, v26, v8
	v_mul_f32_e32 v73, 0xbf0a6770, v83
	v_fmamk_f32 v39, v65, 0xbf27a4f4, v40
	v_mul_f32_e32 v31, 0xbf68dda4, v72
	v_add_f32_e32 v3, v45, v3
	v_fma_f32 v45, 0xbf75a155, v77, -v56
	v_mul_f32_e32 v70, 0x3f7d64f0, v72
	v_add_f32_e32 v2, v39, v2
	v_fma_f32 v34, 0x3ed4b147, v77, -v31
	s_delay_alu instid0(VALU_DEP_4) | instskip(NEXT) | instid1(VALU_DEP_4)
	v_dual_add_f32 v84, v14, v16 :: v_dual_add_f32 v23, v45, v23
	v_fma_f32 v52, 0xbe11bafb, v77, -v70
	v_sub_f32_e32 v89, v17, v15
	s_delay_alu instid0(VALU_DEP_4)
	v_dual_add_f32 v1, v34, v1 :: v_dual_mul_f32 v34, 0xbf7d64f0, v83
	v_mul_f32_e32 v39, 0xbf7d64f0, v81
	v_mul_f32_e32 v80, 0xbf0a6770, v81
	v_sub_f32_e32 v94, v18, v12
	v_sub_f32_e32 v92, v19, v13
	v_fmamk_f32 v55, v75, 0xbe11bafb, v34
	v_fmamk_f32 v51, v65, 0xbf75a155, v43
	v_add_f32_e32 v90, v13, v19
	v_fma_f32 v86, 0x3f575c64, v79, -v80
	v_add_f32_e32 v88, v12, v18
	v_add_f32_e32 v0, v55, v0
	v_dual_add_f32 v22, v51, v22 :: v_dual_fmamk_f32 v51, v65, 0xbe11bafb, v66
	v_mul_f32_e32 v57, 0x3e903f40, v81
	v_mul_f32_e32 v55, 0x3e903f40, v83
	;; [unrolled: 1-line block ×3, first 2 shown]
	s_delay_alu instid0(VALU_DEP_4) | instskip(SKIP_4) | instid1(VALU_DEP_4)
	v_dual_add_f32 v36, v51, v36 :: v_dual_add_f32 v51, v52, v37
	v_fma_f32 v37, 0xbe11bafb, v79, -v39
	v_mul_f32_e32 v62, 0x3f68dda4, v83
	v_fma_f32 v45, 0xbf75a155, v79, -v57
	v_mul_f32_e32 v68, 0x3f68dda4, v81
	v_dual_mul_f32 v76, 0x3f0a6770, v94 :: v_dual_add_f32 v1, v37, v1
	v_fmamk_f32 v37, v75, 0xbf75a155, v55
	s_delay_alu instid0(VALU_DEP_4) | instskip(NEXT) | instid1(VALU_DEP_4)
	v_add_f32_e32 v3, v45, v3
	v_fma_f32 v58, 0x3ed4b147, v79, -v68
	v_fmamk_f32 v52, v75, 0x3ed4b147, v62
	v_fma_f32 v101, 0x3ed4b147, v90, -v96
	v_dual_add_f32 v2, v37, v2 :: v_dual_mul_f32 v45, 0xbf4178ce, v89
	s_delay_alu instid0(VALU_DEP_3) | instskip(SKIP_1) | instid1(VALU_DEP_1)
	v_dual_add_f32 v23, v58, v23 :: v_dual_add_f32 v22, v52, v22
	v_fmamk_f32 v37, v75, 0x3f575c64, v73
	v_dual_add_f32 v97, v37, v36 :: v_dual_fmamk_f32 v36, v84, 0xbf27a4f4, v45
	v_dual_sub_f32 v87, v16, v14 :: v_dual_mul_f32 v58, 0x3f7d64f0, v89
	s_delay_alu instid0(VALU_DEP_2) | instskip(NEXT) | instid1(VALU_DEP_2)
	v_dual_mul_f32 v71, 0xbf0a6770, v89 :: v_dual_add_f32 v0, v36, v0
	v_dual_mul_f32 v82, 0xbf0a6770, v87 :: v_dual_add_f32 v85, v15, v17
	s_delay_alu instid0(VALU_DEP_2)
	v_fmamk_f32 v36, v84, 0x3f575c64, v71
	v_mul_f32_e32 v67, 0x3f7d64f0, v87
	v_mul_f32_e32 v52, 0xbf4178ce, v87
	v_fmamk_f32 v59, v84, 0xbe11bafb, v58
	v_fma_f32 v93, 0x3f575c64, v85, -v82
	v_add_f32_e32 v22, v36, v22
	v_fma_f32 v60, 0xbe11bafb, v85, -v67
	v_fma_f32 v37, 0xbf27a4f4, v85, -v52
	v_dual_add_f32 v2, v59, v2 :: v_dual_mul_f32 v95, 0xbe903f40, v87
	v_add_f32_e32 v23, v93, v23
	s_delay_alu instid0(VALU_DEP_4) | instskip(NEXT) | instid1(VALU_DEP_4)
	v_dual_add_f32 v3, v60, v3 :: v_dual_mul_f32 v60, 0xbe903f40, v94
	v_add_f32_e32 v1, v37, v1
	s_delay_alu instid0(VALU_DEP_4) | instskip(SKIP_1) | instid1(VALU_DEP_4)
	v_fma_f32 v99, 0xbf75a155, v85, -v95
	v_mul_f32_e32 v93, 0x3f68dda4, v92
	v_fma_f32 v37, 0xbf75a155, v90, -v60
	s_delay_alu instid0(VALU_DEP_1) | instskip(NEXT) | instid1(VALU_DEP_1)
	v_dual_mul_f32 v64, 0x3f0a6770, v92 :: v_dual_add_f32 v37, v37, v1
	v_fmamk_f32 v91, v88, 0x3f575c64, v64
	v_mul_f32_e32 v59, 0xbe903f40, v92
	v_add_f32_e32 v1, v86, v51
	v_fma_f32 v98, 0x3f575c64, v90, -v76
	v_mul_f32_e32 v86, 0xbf4178ce, v94
	v_add_f32_e32 v2, v91, v2
	v_fmamk_f32 v36, v88, 0xbf75a155, v59
	v_mul_f32_e32 v91, 0xbe903f40, v89
	v_add_f32_e32 v3, v98, v3
	v_fma_f32 v100, 0xbf27a4f4, v90, -v86
	s_delay_alu instid0(VALU_DEP_4) | instskip(NEXT) | instid1(VALU_DEP_4)
	v_add_f32_e32 v36, v36, v0
	v_fmamk_f32 v51, v84, 0xbf75a155, v91
	s_delay_alu instid0(VALU_DEP_1) | instskip(NEXT) | instid1(VALU_DEP_1)
	v_dual_mul_f32 v78, 0xbf4178ce, v92 :: v_dual_add_f32 v51, v51, v97
	v_dual_fmamk_f32 v0, v88, 0xbf27a4f4, v78 :: v_dual_add_f32 v97, v99, v1
	v_fmamk_f32 v99, v88, 0x3ed4b147, v93
	v_add_f32_e32 v1, v100, v23
	s_delay_alu instid0(VALU_DEP_3) | instskip(NEXT) | instid1(VALU_DEP_3)
	v_dual_add_f32 v0, v0, v22 :: v_dual_add_f32 v23, v101, v97
	v_add_f32_e32 v22, v99, v51
	v_mul_lo_u16 v51, v48, 11
	s_and_saveexec_b32 s0, vcc_lo
	s_cbranch_execz .LBB0_7
; %bb.6:
	v_mul_f32_e32 v102, 0xbf75a155, v69
	v_mul_f32_e32 v63, 0xbe903f40, v63
	;; [unrolled: 1-line block ×5, first 2 shown]
	v_dual_mul_f32 v109, 0xbf27a4f4, v65 :: v_dual_mul_f32 v112, 0xbf27a4f4, v79
	v_fmamk_f32 v116, v53, 0xbf75a155, v63
	v_mul_f32_e32 v101, 0xbe11bafb, v53
	v_fmamk_f32 v117, v65, 0x3f575c64, v74
	v_mul_f32_e32 v83, 0xbf4178ce, v83
	v_mul_f32_e32 v104, 0xbf27a4f4, v53
	v_dual_add_f32 v116, v116, v4 :: v_dual_mul_f32 v105, 0x3ed4b147, v65
	v_dual_mul_f32 v103, 0xbe11bafb, v69 :: v_dual_mul_f32 v118, 0xbe11bafb, v75
	v_mul_f32_e32 v108, 0x3ed4b147, v77
	s_delay_alu instid0(VALU_DEP_3) | instskip(SKIP_3) | instid1(VALU_DEP_4)
	v_dual_add_f32 v116, v117, v116 :: v_dual_fmamk_f32 v117, v75, 0xbf27a4f4, v83
	v_mul_f32_e32 v107, 0x3f575c64, v77
	v_mul_f32_e32 v114, 0xbf75a155, v77
	;; [unrolled: 1-line block ×3, first 2 shown]
	v_dual_mul_f32 v89, 0x3f68dda4, v89 :: v_dual_add_f32 v116, v117, v116
	v_mul_f32_e32 v117, 0xbf75a155, v79
	v_fmamk_f32 v106, v61, 0x3e903f40, v102
	v_fmamk_f32 v111, v72, 0xbf0a6770, v107
	v_fmac_f32_e32 v102, 0xbe903f40, v61
	v_fmac_f32_e32 v107, 0x3f0a6770, v72
	v_fma_f32 v65, 0x3f575c64, v65, -v74
	v_add_f32_e32 v106, v106, v5
	v_mul_f32_e32 v97, 0x3f575c64, v53
	v_add_f32_e32 v102, v102, v5
	v_mul_f32_e32 v72, 0xbe11bafb, v79
	s_delay_alu instid0(VALU_DEP_4)
	v_dual_sub_f32 v43, v113, v43 :: v_dual_add_f32 v106, v111, v106
	v_fmamk_f32 v111, v81, 0x3f4178ce, v112
	v_mul_f32_e32 v99, 0x3ed4b147, v53
	v_fma_f32 v53, 0xbf75a155, v53, -v63
	v_mul_f32_e32 v110, 0xbf27a4f4, v77
	v_add_f32_e32 v102, v107, v102
	v_dual_add_f32 v106, v111, v106 :: v_dual_mul_f32 v111, 0x3ed4b147, v85
	v_fmac_f32_e32 v112, 0xbf4178ce, v81
	v_mul_f32_e32 v77, 0xbe11bafb, v77
	v_add_f32_e32 v53, v53, v4
	v_mul_f32_e32 v107, 0x3ed4b147, v75
	v_fmamk_f32 v61, v87, 0xbf68dda4, v111
	v_mul_f32_e32 v100, 0x3ed4b147, v69
	v_dual_mul_f32 v69, 0xbf27a4f4, v69 :: v_dual_add_f32 v102, v112, v102
	v_add_f32_e32 v53, v65, v53
	v_dual_mul_f32 v65, 0xbe11bafb, v84 :: v_dual_add_f32 v70, v70, v77
	s_delay_alu instid0(VALU_DEP_3) | instskip(SKIP_2) | instid1(VALU_DEP_3)
	v_dual_add_f32 v54, v54, v69 :: v_dual_add_f32 v61, v61, v106
	v_mul_f32_e32 v106, 0xbf75a155, v75
	v_mul_f32_e32 v69, 0xbe11bafb, v90
	v_dual_mul_f32 v63, 0x3f575c64, v75 :: v_dual_add_f32 v54, v54, v5
	v_fma_f32 v75, 0xbf27a4f4, v75, -v83
	v_mul_f32_e32 v74, 0xbf27a4f4, v84
	s_delay_alu instid0(VALU_DEP_4)
	v_fmamk_f32 v77, v94, 0x3f7d64f0, v69
	v_fmac_f32_e32 v69, 0xbf7d64f0, v94
	v_add_f32_e32 v70, v70, v54
	v_mul_f32_e32 v54, 0xbf7d64f0, v92
	v_dual_fmac_f32 v111, 0x3f68dda4, v87 :: v_dual_sub_f32 v66, v115, v66
	v_sub_f32_e32 v92, v104, v44
	v_fmamk_f32 v87, v84, 0x3ed4b147, v89
	s_delay_alu instid0(VALU_DEP_3) | instskip(SKIP_2) | instid1(VALU_DEP_4)
	v_dual_mul_f32 v81, 0x3ed4b147, v79 :: v_dual_add_f32 v102, v111, v102
	v_mul_f32_e32 v79, 0x3f575c64, v79
	v_add_f32_e32 v53, v75, v53
	v_add_f32_e32 v87, v87, v116
	v_mul_f32_e32 v116, 0x3f575c64, v84
	v_mul_f32_e32 v75, 0xbf75a155, v84
	v_fma_f32 v84, 0x3ed4b147, v84, -v89
	v_mul_f32_e32 v83, 0xbe11bafb, v85
	v_dual_mul_f32 v111, 0x3f575c64, v85 :: v_dual_add_f32 v56, v56, v114
	s_delay_alu instid0(VALU_DEP_3)
	v_dual_mul_f32 v94, 0xbf75a155, v90 :: v_dual_add_f32 v53, v84, v53
	v_mul_f32_e32 v84, 0x3f575c64, v88
	v_dual_mul_f32 v112, 0xbf27a4f4, v85 :: v_dual_add_f32 v79, v80, v79
	v_mul_f32_e32 v85, 0xbf75a155, v85
	v_mul_f32_e32 v104, 0xbf27a4f4, v90
	v_dual_fmamk_f32 v115, v88, 0xbe11bafb, v54 :: v_dual_sub_f32 v38, v101, v38
	v_fma_f32 v120, 0xbe11bafb, v88, -v54
	v_add_f32_e32 v54, v69, v102
	v_add_f32_e32 v41, v41, v103
	;; [unrolled: 1-line block ×3, first 2 shown]
	v_dual_add_f32 v70, v95, v85 :: v_dual_mul_f32 v119, 0x3f575c64, v90
	v_mul_f32_e32 v90, 0x3ed4b147, v90
	v_dual_mul_f32 v89, 0xbf75a155, v88 :: v_dual_add_f32 v44, v77, v61
	v_add_f32_e32 v61, v92, v4
	v_dual_sub_f32 v63, v63, v73 :: v_dual_add_f32 v38, v38, v4
	v_dual_add_f32 v41, v41, v5 :: v_dual_mul_f32 v80, 0xbf27a4f4, v88
	v_add_f32_e32 v68, v68, v81
	s_delay_alu instid0(VALU_DEP_3) | instskip(NEXT) | instid1(VALU_DEP_3)
	v_dual_add_f32 v53, v120, v53 :: v_dual_add_f32 v38, v43, v38
	v_add_f32_e32 v56, v56, v41
	v_add_f32_e32 v61, v66, v61
	v_dual_sub_f32 v43, v107, v62 :: v_dual_sub_f32 v40, v109, v40
	v_mul_f32_e32 v88, 0x3ed4b147, v88
	v_add_f32_e32 v66, v70, v69
	s_delay_alu instid0(VALU_DEP_4) | instskip(SKIP_4) | instid1(VALU_DEP_3)
	v_dual_add_f32 v56, v68, v56 :: v_dual_add_f32 v61, v63, v61
	v_dual_add_f32 v42, v42, v110 :: v_dual_sub_f32 v63, v75, v91
	v_dual_add_f32 v33, v33, v100 :: v_dual_add_f32 v38, v43, v38
	v_dual_add_f32 v69, v96, v90 :: v_dual_sub_f32 v32, v99, v32
	v_dual_sub_f32 v43, v116, v71 :: v_dual_add_f32 v6, v6, v4
	v_add_f32_e32 v68, v33, v5
	s_delay_alu instid0(VALU_DEP_3) | instskip(SKIP_2) | instid1(VALU_DEP_4)
	v_dual_add_f32 v41, v69, v66 :: v_dual_sub_f32 v66, v88, v93
	v_add_f32_e32 v61, v63, v61
	v_add_f32_e32 v63, v82, v111
	;; [unrolled: 1-line block ×3, first 2 shown]
	v_dual_add_f32 v32, v32, v4 :: v_dual_add_f32 v7, v7, v5
	v_add_f32_e32 v38, v43, v38
	s_delay_alu instid0(VALU_DEP_4) | instskip(SKIP_1) | instid1(VALU_DEP_4)
	v_add_f32_e32 v56, v63, v56
	v_add_f32_e32 v63, v86, v104
	;; [unrolled: 1-line block ×3, first 2 shown]
	v_dual_sub_f32 v43, v80, v78 :: v_dual_sub_f32 v40, v106, v55
	v_add_f32_e32 v29, v29, v98
	s_delay_alu instid0(VALU_DEP_4) | instskip(SKIP_3) | instid1(VALU_DEP_3)
	v_dual_add_f32 v33, v63, v56 :: v_dual_add_f32 v56, v57, v117
	v_dual_add_f32 v7, v25, v7 :: v_dual_add_f32 v24, v24, v6
	v_add_f32_e32 v55, v76, v119
	v_add_f32_e32 v40, v40, v32
	v_dual_add_f32 v42, v56, v42 :: v_dual_add_f32 v7, v27, v7
	v_dual_add_f32 v56, v67, v83 :: v_dual_sub_f32 v27, v97, v28
	v_dual_add_f32 v24, v26, v24 :: v_dual_add_f32 v5, v29, v5
	s_delay_alu instid0(VALU_DEP_2) | instskip(SKIP_1) | instid1(VALU_DEP_3)
	v_dual_add_f32 v7, v17, v7 :: v_dual_add_f32 v42, v56, v42
	v_dual_sub_f32 v56, v65, v58 :: v_dual_add_f32 v17, v31, v108
	v_add_f32_e32 v16, v16, v24
	s_delay_alu instid0(VALU_DEP_3) | instskip(NEXT) | instid1(VALU_DEP_4)
	v_dual_sub_f32 v26, v84, v64 :: v_dual_add_f32 v7, v19, v7
	v_add_f32_e32 v6, v55, v42
	v_add_f32_e32 v4, v27, v4
	v_sub_f32_e32 v24, v105, v30
	v_add_f32_e32 v5, v17, v5
	v_add_f32_e32 v17, v39, v72
	v_dual_add_f32 v16, v18, v16 :: v_dual_add_f32 v7, v13, v7
	s_delay_alu instid0(VALU_DEP_4) | instskip(NEXT) | instid1(VALU_DEP_2)
	v_dual_add_f32 v4, v24, v4 :: v_dual_sub_f32 v13, v118, v34
	v_dual_add_f32 v5, v17, v5 :: v_dual_add_f32 v12, v12, v16
	s_delay_alu instid0(VALU_DEP_3) | instskip(NEXT) | instid1(VALU_DEP_3)
	v_dual_add_f32 v7, v15, v7 :: v_dual_add_f32 v16, v52, v112
	v_dual_add_f32 v4, v13, v4 :: v_dual_sub_f32 v13, v74, v45
	s_delay_alu instid0(VALU_DEP_3) | instskip(SKIP_1) | instid1(VALU_DEP_4)
	v_add_f32_e32 v12, v14, v12
	v_dual_add_f32 v32, v43, v38 :: v_dual_add_f32 v25, v56, v40
	v_add_f32_e32 v5, v16, v5
	s_delay_alu instid0(VALU_DEP_3) | instskip(SKIP_2) | instid1(VALU_DEP_3)
	v_dual_add_f32 v7, v9, v7 :: v_dual_add_f32 v8, v8, v12
	v_dual_add_f32 v9, v60, v94 :: v_dual_add_f32 v4, v13, v4
	v_sub_f32_e32 v12, v89, v59
	v_add_f32_e32 v11, v11, v7
	s_delay_alu instid0(VALU_DEP_4) | instskip(NEXT) | instid1(VALU_DEP_4)
	v_dual_add_f32 v13, v10, v8 :: v_dual_and_b32 v14, 0xffff, v51
	v_dual_add_f32 v8, v9, v5 :: v_dual_add_f32 v43, v115, v87
	s_delay_alu instid0(VALU_DEP_3) | instskip(NEXT) | instid1(VALU_DEP_3)
	v_dual_add_f32 v7, v12, v4 :: v_dual_add_f32 v10, v21, v11
	v_add_f32_e32 v9, v20, v13
	s_delay_alu instid0(VALU_DEP_4)
	v_add_lshl_u32 v4, v47, v14, 3
	v_add_f32_e32 v5, v26, v25
	v_add_f32_e32 v40, v66, v61
	ds_store_2addr_b64 v4, v[9:10], v[7:8] offset1:1
	ds_store_2addr_b64 v4, v[5:6], v[32:33] offset0:2 offset1:3
	ds_store_2addr_b64 v4, v[40:41], v[53:54] offset0:4 offset1:5
	;; [unrolled: 1-line block ×4, first 2 shown]
	ds_store_b64 v4, v[36:37] offset:80
.LBB0_7:
	s_wait_alu 0xfffe
	s_or_b32 exec_lo, exec_lo, s0
	v_add_co_u32 v24, s0, v48, -11
	s_wait_alu 0xf1ff
	v_add_co_ci_u32_e64 v25, null, 0, -1, s0
	v_cmp_gt_u16_e64 s0, 11, v48
	s_load_b128 s[4:7], s[4:5], 0x0
	global_wb scope:SCOPE_SE
	s_wait_dscnt 0x0
	s_wait_kmcnt 0x0
	s_barrier_signal -1
	s_barrier_wait -1
	v_cndmask_b32_e64 v34, v24, v48, s0
	global_inv scope:SCOPE_SE
	v_add_lshl_u32 v53, v47, v48, 3
	v_mul_hi_i32_i24_e32 v5, 6, v34
	v_mul_i32_i24_e32 v4, 6, v34
	s_delay_alu instid0(VALU_DEP_1) | instskip(NEXT) | instid1(VALU_DEP_1)
	v_lshlrev_b64_e32 v[4:5], 3, v[4:5]
	v_add_co_u32 v4, s1, s2, v4
	s_wait_alu 0xf1ff
	s_delay_alu instid0(VALU_DEP_2)
	v_add_co_ci_u32_e64 v5, s1, s3, v5, s1
	s_clause 0x2
	global_load_b128 v[12:15], v[4:5], off
	global_load_b128 v[8:11], v[4:5], off offset:16
	global_load_b128 v[4:7], v[4:5], off offset:32
	ds_load_2addr_b64 v[16:19], v53 offset1:22
	ds_load_2addr_b64 v[26:29], v53 offset0:44 offset1:66
	ds_load_2addr_b64 v[30:33], v53 offset0:88 offset1:110
	ds_load_b64 v[20:21], v53 offset:1056
	v_cmp_lt_u16_e64 s1, 10, v48
	global_wb scope:SCOPE_SE
	s_wait_loadcnt_dscnt 0x0
	s_barrier_signal -1
	s_barrier_wait -1
	global_inv scope:SCOPE_SE
	s_wait_alu 0xf1ff
	v_cndmask_b32_e64 v38, 0, 0x4d, s1
	s_delay_alu instid0(VALU_DEP_1) | instskip(SKIP_2) | instid1(VALU_DEP_3)
	v_dual_mul_f32 v39, v27, v15 :: v_dual_add_nc_u32 v34, v34, v38
	v_dual_mul_f32 v38, v18, v13 :: v_dual_mul_f32 v43, v31, v11
	v_dual_mul_f32 v44, v30, v11 :: v_dual_mul_f32 v45, v33, v5
	v_add_lshl_u32 v54, v47, v34, 3
	v_dual_mul_f32 v34, v19, v13 :: v_dual_mul_f32 v55, v21, v7
	s_delay_alu instid0(VALU_DEP_3)
	v_fmac_f32_e32 v44, v31, v10
	v_fmac_f32_e32 v38, v19, v12
	v_fma_f32 v19, v26, v14, -v39
	v_mul_f32_e32 v56, v20, v7
	v_dual_mul_f32 v40, v26, v15 :: v_dual_mul_f32 v41, v29, v9
	v_fma_f32 v18, v18, v12, -v34
	v_fma_f32 v20, v20, v6, -v55
	s_delay_alu instid0(VALU_DEP_4)
	v_fmac_f32_e32 v56, v21, v6
	v_mul_f32_e32 v42, v28, v9
	v_fma_f32 v21, v32, v4, -v45
	v_fma_f32 v26, v28, v8, -v41
	v_add_f32_e32 v28, v18, v20
	v_fmac_f32_e32 v40, v27, v14
	v_fma_f32 v27, v30, v10, -v43
	v_add_f32_e32 v30, v19, v21
	v_dual_sub_f32 v19, v19, v21 :: v_dual_fmac_f32 v42, v29, v8
	v_mul_f32_e32 v52, v32, v5
	s_delay_alu instid0(VALU_DEP_4) | instskip(NEXT) | instid1(VALU_DEP_4)
	v_add_f32_e32 v32, v26, v27
	v_dual_sub_f32 v26, v27, v26 :: v_dual_sub_f32 v39, v30, v28
	s_delay_alu instid0(VALU_DEP_1) | instskip(SKIP_1) | instid1(VALU_DEP_2)
	v_dual_fmac_f32 v52, v33, v4 :: v_dual_sub_f32 v43, v26, v19
	v_add_f32_e32 v41, v26, v19
	v_add_f32_e32 v31, v40, v52
	v_sub_f32_e32 v21, v40, v52
	v_add_f32_e32 v33, v42, v44
	v_sub_f32_e32 v27, v44, v42
	;; [unrolled: 2-line block ×3, first 2 shown]
	v_sub_f32_e32 v20, v38, v56
	s_delay_alu instid0(VALU_DEP_4) | instskip(NEXT) | instid1(VALU_DEP_4)
	v_sub_f32_e32 v44, v27, v21
	v_add_f32_e32 v38, v31, v29
	v_sub_f32_e32 v40, v31, v29
	v_sub_f32_e32 v29, v29, v33
	;; [unrolled: 1-line block ×4, first 2 shown]
	s_delay_alu instid0(VALU_DEP_3)
	v_dual_mul_f32 v29, 0x3f4a47b2, v29 :: v_dual_sub_f32 v26, v18, v26
	v_dual_add_f32 v18, v41, v18 :: v_dual_mul_f32 v41, 0xbf08b237, v43
	v_dual_add_f32 v42, v27, v21 :: v_dual_sub_f32 v27, v20, v27
	v_dual_add_f32 v34, v30, v28 :: v_dual_add_f32 v33, v33, v38
	v_sub_f32_e32 v21, v21, v20
	v_sub_f32_e32 v28, v28, v32
	;; [unrolled: 1-line block ×3, first 2 shown]
	s_delay_alu instid0(VALU_DEP_4)
	v_add_f32_e32 v32, v32, v34
	v_mul_f32_e32 v38, 0x3d64c772, v31
	v_mul_f32_e32 v43, 0x3f5ff5aa, v19
	v_add_f32_e32 v17, v17, v33
	v_dual_fmamk_f32 v31, v31, 0x3d64c772, v29 :: v_dual_mul_f32 v34, 0x3d64c772, v30
	v_fma_f32 v29, 0xbf3bfb3b, v40, -v29
	v_mul_f32_e32 v28, 0x3f4a47b2, v28
	v_fma_f32 v38, 0x3f3bfb3b, v40, -v38
	s_delay_alu instid0(VALU_DEP_4) | instskip(NEXT) | instid1(VALU_DEP_3)
	v_fma_f32 v34, 0x3f3bfb3b, v39, -v34
	v_fmamk_f32 v30, v30, 0x3d64c772, v28
	v_fma_f32 v28, 0xbf3bfb3b, v39, -v28
	v_fmamk_f32 v39, v26, 0x3eae86e6, v41
	v_fma_f32 v41, 0x3f5ff5aa, v19, -v41
	v_add_f32_e32 v16, v16, v32
	s_delay_alu instid0(VALU_DEP_3) | instskip(NEXT) | instid1(VALU_DEP_2)
	v_dual_add_f32 v20, v42, v20 :: v_dual_fmac_f32 v39, 0x3ee1c552, v18
	v_fmamk_f32 v19, v32, 0xbf955555, v16
	v_mul_f32_e32 v42, 0xbf08b237, v44
	v_mul_f32_e32 v44, 0x3f5ff5aa, v21
	s_delay_alu instid0(VALU_DEP_3) | instskip(NEXT) | instid1(VALU_DEP_3)
	v_add_f32_e32 v32, v28, v19
	v_fma_f32 v21, 0x3f5ff5aa, v21, -v42
	v_fmamk_f32 v40, v27, 0x3eae86e6, v42
	s_delay_alu instid0(VALU_DEP_2) | instskip(SKIP_4) | instid1(VALU_DEP_3)
	v_fmac_f32_e32 v21, 0x3ee1c552, v20
	v_fma_f32 v42, 0xbeae86e6, v26, -v43
	v_fma_f32 v43, 0xbeae86e6, v27, -v44
	v_fmamk_f32 v26, v33, 0xbf955555, v17
	v_fmac_f32_e32 v40, 0x3ee1c552, v20
	v_dual_fmac_f32 v43, 0x3ee1c552, v20 :: v_dual_add_f32 v20, v30, v19
	s_delay_alu instid0(VALU_DEP_3) | instskip(SKIP_1) | instid1(VALU_DEP_2)
	v_add_f32_e32 v44, v31, v26
	v_add_f32_e32 v30, v34, v19
	v_sub_f32_e32 v19, v44, v39
	v_fmac_f32_e32 v41, 0x3ee1c552, v18
	v_fmac_f32_e32 v42, 0x3ee1c552, v18
	s_delay_alu instid0(VALU_DEP_4) | instskip(SKIP_4) | instid1(VALU_DEP_3)
	v_sub_f32_e32 v28, v30, v21
	v_dual_add_f32 v30, v21, v30 :: v_dual_add_f32 v21, v39, v44
	v_add_f32_e32 v33, v29, v26
	v_dual_add_f32 v31, v38, v26 :: v_dual_add_f32 v18, v40, v20
	v_add_f32_e32 v26, v43, v32
	v_dual_sub_f32 v32, v32, v43 :: v_dual_sub_f32 v27, v33, v42
	s_delay_alu instid0(VALU_DEP_3)
	v_add_f32_e32 v29, v41, v31
	v_sub_f32_e32 v31, v31, v41
	v_dual_add_f32 v33, v42, v33 :: v_dual_sub_f32 v20, v20, v40
	ds_store_2addr_b64 v54, v[16:17], v[18:19] offset1:11
	ds_store_2addr_b64 v54, v[26:27], v[28:29] offset0:22 offset1:33
	ds_store_2addr_b64 v54, v[30:31], v[32:33] offset0:44 offset1:55
	ds_store_b64 v54, v[20:21] offset:528
	global_wb scope:SCOPE_SE
	s_wait_dscnt 0x0
	s_barrier_signal -1
	s_barrier_wait -1
	global_inv scope:SCOPE_SE
	ds_load_2addr_b64 v[31:34], v53 offset1:22
	ds_load_2addr_b64 v[26:29], v53 offset0:44 offset1:77
	ds_load_2addr_b64 v[16:19], v53 offset0:99 offset1:121
	s_and_saveexec_b32 s1, s0
	s_cbranch_execz .LBB0_9
; %bb.8:
	ds_load_2addr_b64 v[20:23], v53 offset0:66 offset1:143
	v_add_co_u32 v24, s10, 0x42, v48
	s_wait_alu 0xf1ff
	v_add_co_ci_u32_e64 v25, null, 0, 0, s10
.LBB0_9:
	s_wait_alu 0xfffe
	s_or_b32 exec_lo, exec_lo, s1
	global_load_b64 v[40:41], v49, s[2:3] offset:528
	v_lshlrev_b64_e32 v[24:25], 3, v[24:25]
	s_clause 0x1
	global_load_b64 v[44:45], v49, s[2:3] offset:704
	global_load_b64 v[42:43], v49, s[2:3] offset:880
	v_add_nc_u32_e32 v55, v49, v50
	v_lshl_add_u32 v52, v48, 3, v50
	v_add_co_u32 v24, s1, s2, v24
	s_wait_alu 0xf1ff
	v_add_co_ci_u32_e64 v25, s1, s3, v25, s1
	global_load_b64 v[38:39], v[24:25], off offset:528
	s_wait_loadcnt_dscnt 0x301
	v_mul_f32_e32 v25, v28, v41
	s_wait_loadcnt_dscnt 0x200
	v_mul_f32_e32 v56, v16, v45
	s_wait_loadcnt 0x1
	v_mul_f32_e32 v58, v18, v43
	v_dual_mul_f32 v24, v29, v41 :: v_dual_mul_f32 v57, v19, v43
	v_fmac_f32_e32 v25, v29, v40
	v_fmac_f32_e32 v56, v17, v44
	s_delay_alu instid0(VALU_DEP_4) | instskip(NEXT) | instid1(VALU_DEP_4)
	v_fmac_f32_e32 v58, v19, v42
	v_fma_f32 v24, v28, v40, -v24
	s_delay_alu instid0(VALU_DEP_4) | instskip(NEXT) | instid1(VALU_DEP_4)
	v_sub_f32_e32 v19, v32, v25
	v_dual_mul_f32 v30, v17, v45 :: v_dual_sub_f32 v25, v34, v56
	v_fma_f32 v17, v18, v42, -v57
	v_sub_f32_e32 v29, v27, v58
	s_delay_alu instid0(VALU_DEP_3)
	v_fma_f32 v16, v16, v44, -v30
	s_wait_loadcnt 0x0
	v_mul_f32_e32 v30, v22, v39
	v_sub_f32_e32 v28, v26, v17
	v_fma_f32 v17, v32, 2.0, -v19
	v_fma_f32 v27, v27, 2.0, -v29
	s_delay_alu instid0(VALU_DEP_4)
	v_fmac_f32_e32 v30, v23, v38
	v_sub_f32_e32 v18, v31, v24
	v_sub_f32_e32 v24, v33, v16
	v_mul_f32_e32 v16, v23, v39
	v_fma_f32 v23, v34, 2.0, -v25
	v_fma_f32 v26, v26, 2.0, -v28
	s_delay_alu instid0(VALU_DEP_3)
	v_fma_f32 v56, v22, v38, -v16
	v_fma_f32 v22, v33, 2.0, -v24
	v_sub_f32_e32 v33, v21, v30
	v_fma_f32 v16, v31, 2.0, -v18
	ds_store_2addr_b64 v52, v[16:17], v[22:23] offset1:22
	ds_store_b64 v52, v[24:25] offset:792
	ds_store_2addr_b64 v52, v[26:27], v[18:19] offset0:44 offset1:77
	ds_store_b64 v55, v[28:29] offset:968
	v_sub_f32_e32 v32, v20, v56
	v_fma_f32 v31, v21, 2.0, -v33
	s_delay_alu instid0(VALU_DEP_2)
	v_fma_f32 v30, v20, 2.0, -v32
	s_and_saveexec_b32 s1, s0
	s_cbranch_execz .LBB0_11
; %bb.10:
	ds_store_2addr_b64 v52, v[30:31], v[32:33] offset0:66 offset1:143
.LBB0_11:
	s_wait_alu 0xfffe
	s_or_b32 exec_lo, exec_lo, s1
	global_wb scope:SCOPE_SE
	s_wait_dscnt 0x0
	s_barrier_signal -1
	s_barrier_wait -1
	global_inv scope:SCOPE_SE
	s_and_saveexec_b32 s1, vcc_lo
	s_cbranch_execz .LBB0_13
; %bb.12:
	s_add_nc_u64 s[2:3], s[12:13], 0x4d0
	s_clause 0xa
	global_load_b64 v[20:21], v49, s[12:13] offset:1232
	global_load_b64 v[76:77], v49, s[2:3] offset:112
	;; [unrolled: 1-line block ×11, first 2 shown]
	ds_load_2addr_b64 v[56:59], v52 offset1:14
	ds_load_2addr_b64 v[60:63], v52 offset0:28 offset1:42
	ds_load_2addr_b64 v[64:67], v52 offset0:56 offset1:70
	;; [unrolled: 1-line block ×4, first 2 shown]
	ds_load_b64 v[96:97], v52 offset:1120
	s_wait_loadcnt_dscnt 0xa05
	v_mul_f32_e32 v34, v57, v21
	v_mul_f32_e32 v99, v56, v21
	s_wait_loadcnt_dscnt 0x804
	v_dual_mul_f32 v100, v59, v77 :: v_dual_mul_f32 v101, v61, v79
	v_mul_f32_e32 v21, v58, v77
	s_wait_loadcnt 0x7
	v_dual_mul_f32 v77, v60, v79 :: v_dual_mul_f32 v102, v63, v81
	s_wait_loadcnt_dscnt 0x603
	v_mul_f32_e32 v103, v65, v83
	v_mul_f32_e32 v79, v62, v81
	s_wait_loadcnt 0x5
	v_dual_mul_f32 v81, v64, v83 :: v_dual_mul_f32 v104, v67, v85
	v_mul_f32_e32 v83, v66, v85
	s_wait_loadcnt_dscnt 0x302
	v_dual_mul_f32 v105, v69, v87 :: v_dual_mul_f32 v106, v71, v89
	s_wait_loadcnt_dscnt 0x101
	v_dual_mul_f32 v85, v68, v87 :: v_dual_mul_f32 v108, v75, v93
	v_mul_f32_e32 v87, v70, v89
	v_mul_f32_e32 v107, v73, v91
	;; [unrolled: 1-line block ×4, first 2 shown]
	s_wait_loadcnt_dscnt 0x0
	v_mul_f32_e32 v109, v97, v95
	v_mul_f32_e32 v93, v96, v95
	v_fma_f32 v98, v56, v20, -v34
	v_fmac_f32_e32 v99, v57, v20
	v_fma_f32 v20, v58, v76, -v100
	v_fmac_f32_e32 v21, v59, v76
	;; [unrolled: 2-line block ×11, first 2 shown]
	ds_store_2addr_b64 v52, v[98:99], v[20:21] offset1:14
	ds_store_2addr_b64 v52, v[76:77], v[78:79] offset0:28 offset1:42
	ds_store_2addr_b64 v52, v[80:81], v[82:83] offset0:56 offset1:70
	;; [unrolled: 1-line block ×4, first 2 shown]
	ds_store_b64 v52, v[92:93] offset:1120
.LBB0_13:
	s_wait_alu 0xfffe
	s_or_b32 exec_lo, exec_lo, s1
	global_wb scope:SCOPE_SE
	s_wait_dscnt 0x0
	s_barrier_signal -1
	s_barrier_wait -1
	global_inv scope:SCOPE_SE
	s_and_saveexec_b32 s1, vcc_lo
	s_cbranch_execz .LBB0_15
; %bb.14:
	ds_load_2addr_b64 v[16:19], v52 offset1:14
	ds_load_2addr_b64 v[22:25], v52 offset0:28 offset1:42
	ds_load_2addr_b64 v[26:29], v52 offset0:56 offset1:70
	;; [unrolled: 1-line block ×4, first 2 shown]
	ds_load_b64 v[36:37], v52 offset:1120
.LBB0_15:
	s_wait_alu 0xfffe
	s_or_b32 exec_lo, exec_lo, s1
	s_wait_dscnt 0x0
	v_dual_add_f32 v71, v37, v19 :: v_dual_sub_f32 v58, v18, v36
	v_dual_sub_f32 v65, v19, v37 :: v_dual_add_f32 v34, v36, v18
	v_dual_sub_f32 v57, v22, v2 :: v_dual_add_f32 v74, v1, v25
	s_delay_alu instid0(VALU_DEP_3) | instskip(NEXT) | instid1(VALU_DEP_3)
	v_dual_mul_f32 v79, 0xbf27a4f4, v71 :: v_dual_add_f32 v56, v2, v22
	v_dual_mul_f32 v76, 0xbf4178ce, v65 :: v_dual_add_f32 v73, v3, v23
	s_delay_alu instid0(VALU_DEP_2) | instskip(SKIP_1) | instid1(VALU_DEP_3)
	v_dual_sub_f32 v66, v23, v3 :: v_dual_fmamk_f32 v21, v58, 0xbf4178ce, v79
	v_sub_f32_e32 v60, v24, v0
	v_fma_f32 v20, 0xbf27a4f4, v34, -v76
	s_delay_alu instid0(VALU_DEP_4) | instskip(NEXT) | instid1(VALU_DEP_4)
	v_mul_f32_e32 v81, 0xbe11bafb, v73
	v_dual_mul_f32 v82, 0x3f575c64, v74 :: v_dual_add_f32 v21, v17, v21
	s_delay_alu instid0(VALU_DEP_3) | instskip(NEXT) | instid1(VALU_DEP_2)
	v_dual_mul_f32 v75, 0x3f7d64f0, v66 :: v_dual_add_f32 v20, v16, v20
	v_dual_sub_f32 v68, v27, v33 :: v_dual_fmamk_f32 v63, v60, 0xbf0a6770, v82
	v_sub_f32_e32 v67, v25, v1
	s_delay_alu instid0(VALU_DEP_3) | instskip(SKIP_1) | instid1(VALU_DEP_4)
	v_fma_f32 v61, 0xbe11bafb, v56, -v75
	v_dual_fmamk_f32 v62, v57, 0x3f7d64f0, v81 :: v_dual_add_f32 v59, v0, v24
	v_mul_f32_e32 v78, 0xbe903f40, v68
	s_delay_alu instid0(VALU_DEP_3) | instskip(NEXT) | instid1(VALU_DEP_3)
	v_dual_mul_f32 v77, 0xbf0a6770, v67 :: v_dual_add_f32 v20, v61, v20
	v_dual_add_f32 v21, v62, v21 :: v_dual_add_f32 v72, v33, v27
	v_sub_f32_e32 v69, v29, v31
	s_delay_alu instid0(VALU_DEP_3) | instskip(SKIP_1) | instid1(VALU_DEP_4)
	v_fma_f32 v62, 0x3f575c64, v59, -v77
	v_dual_add_f32 v61, v32, v26 :: v_dual_add_f32 v70, v31, v29
	v_dual_mul_f32 v84, 0xbf75a155, v72 :: v_dual_add_f32 v21, v63, v21
	s_delay_alu instid0(VALU_DEP_3) | instskip(SKIP_1) | instid1(VALU_DEP_4)
	v_add_f32_e32 v20, v62, v20
	v_sub_f32_e32 v62, v26, v32
	v_fma_f32 v85, 0xbf75a155, v61, -v78
	v_dual_add_f32 v63, v30, v28 :: v_dual_mul_f32 v80, 0x3f68dda4, v69
	v_mul_f32_e32 v83, 0x3ed4b147, v70
	s_delay_alu instid0(VALU_DEP_4) | instskip(NEXT) | instid1(VALU_DEP_4)
	v_fmamk_f32 v86, v62, 0xbe903f40, v84
	v_add_f32_e32 v20, v85, v20
	v_sub_f32_e32 v64, v28, v30
	v_fma_f32 v85, 0x3ed4b147, v63, -v80
	global_wb scope:SCOPE_SE
	v_add_f32_e32 v21, v86, v21
	s_barrier_signal -1
	v_fmamk_f32 v86, v64, 0x3f68dda4, v83
	v_add_f32_e32 v20, v85, v20
	s_barrier_wait -1
	global_inv scope:SCOPE_SE
	v_add_f32_e32 v21, v86, v21
	s_and_saveexec_b32 s1, vcc_lo
	s_cbranch_execz .LBB0_17
; %bb.16:
	v_dual_mul_f32 v85, 0xbe903f40, v58 :: v_dual_mul_f32 v98, 0xbe903f40, v65
	v_dual_mul_f32 v88, 0xbf4178ce, v58 :: v_dual_mul_f32 v95, 0xbf4178ce, v60
	v_mul_f32_e32 v86, 0x3f0a6770, v57
	v_mul_f32_e32 v105, 0xbf4178ce, v67
	s_delay_alu instid0(VALU_DEP_4)
	v_fma_f32 v101, 0xbf75a155, v34, -v98
	v_fmamk_f32 v90, v71, 0xbf75a155, v85
	v_fma_f32 v85, 0xbf75a155, v71, -v85
	v_dual_mul_f32 v100, 0x3ed4b147, v63 :: v_dual_sub_f32 v79, v79, v88
	v_fma_f32 v108, 0x3f575c64, v73, -v86
	v_add_f32_e32 v101, v16, v101
	s_delay_alu instid0(VALU_DEP_4) | instskip(SKIP_2) | instid1(VALU_DEP_3)
	v_dual_add_f32 v85, v17, v85 :: v_dual_mul_f32 v102, 0x3f0a6770, v66
	v_dual_mul_f32 v89, 0xbe11bafb, v56 :: v_dual_add_f32 v90, v17, v90
	v_mul_f32_e32 v87, 0xbf27a4f4, v34
	v_add_f32_e32 v85, v108, v85
	s_delay_alu instid0(VALU_DEP_4) | instskip(SKIP_3) | instid1(VALU_DEP_4)
	v_fma_f32 v104, 0x3f575c64, v56, -v102
	v_mul_f32_e32 v92, 0x3f575c64, v59
	v_dual_mul_f32 v99, 0x3f68dda4, v62 :: v_dual_mul_f32 v106, 0x3f68dda4, v68
	v_dual_mul_f32 v96, 0xbf75a155, v61 :: v_dual_add_f32 v79, v17, v79
	v_add_f32_e32 v101, v104, v101
	v_fma_f32 v104, 0xbf27a4f4, v59, -v105
	v_fmamk_f32 v94, v73, 0x3f575c64, v86
	v_add_f32_e32 v75, v89, v75
	v_dual_add_f32 v19, v19, v17 :: v_dual_add_f32 v18, v18, v16
	s_delay_alu instid0(VALU_DEP_4) | instskip(NEXT) | instid1(VALU_DEP_4)
	v_add_f32_e32 v101, v104, v101
	v_dual_mul_f32 v91, 0x3f7d64f0, v57 :: v_dual_add_f32 v90, v94, v90
	v_fmamk_f32 v94, v74, 0xbf27a4f4, v95
	v_mul_f32_e32 v93, 0xbf0a6770, v60
	v_fma_f32 v104, 0x3ed4b147, v61, -v106
	s_delay_alu instid0(VALU_DEP_4) | instskip(NEXT) | instid1(VALU_DEP_4)
	v_dual_fmac_f32 v98, 0xbf75a155, v34 :: v_dual_sub_f32 v81, v81, v91
	v_add_f32_e32 v90, v94, v90
	v_fmamk_f32 v94, v72, 0x3ed4b147, v99
	s_delay_alu instid0(VALU_DEP_3) | instskip(NEXT) | instid1(VALU_DEP_4)
	v_dual_mul_f32 v103, 0x3f68dda4, v64 :: v_dual_add_f32 v98, v16, v98
	v_dual_fmac_f32 v106, 0x3ed4b147, v61 :: v_dual_add_f32 v79, v81, v79
	s_delay_alu instid0(VALU_DEP_3) | instskip(SKIP_2) | instid1(VALU_DEP_2)
	v_add_f32_e32 v90, v94, v90
	v_dual_mul_f32 v94, 0xbf7d64f0, v64 :: v_dual_sub_f32 v81, v82, v93
	v_dual_add_f32 v76, v87, v76 :: v_dual_mul_f32 v87, 0xbe11bafb, v71
	v_dual_add_f32 v78, v96, v78 :: v_dual_fmamk_f32 v107, v70, 0xbe11bafb, v94
	s_delay_alu instid0(VALU_DEP_2) | instskip(SKIP_1) | instid1(VALU_DEP_3)
	v_dual_add_f32 v79, v81, v79 :: v_dual_add_f32 v76, v16, v76
	v_dual_add_f32 v18, v22, v18 :: v_dual_add_f32 v19, v23, v19
	v_add_f32_e32 v86, v107, v90
	v_fma_f32 v90, 0xbf27a4f4, v74, -v95
	v_dual_add_f32 v95, v104, v101 :: v_dual_fmac_f32 v102, 0x3f575c64, v56
	v_mul_f32_e32 v101, 0xbf7d64f0, v69
	v_fma_f32 v91, 0xbe11bafb, v70, -v94
	s_delay_alu instid0(VALU_DEP_4) | instskip(SKIP_4) | instid1(VALU_DEP_4)
	v_add_f32_e32 v85, v90, v85
	v_fma_f32 v90, 0x3ed4b147, v72, -v99
	v_add_f32_e32 v98, v102, v98
	v_mul_f32_e32 v97, 0xbe903f40, v62
	v_fma_f32 v88, 0xbe11bafb, v63, -v101
	v_dual_fmac_f32 v101, 0xbe11bafb, v63 :: v_dual_add_f32 v90, v90, v85
	s_delay_alu instid0(VALU_DEP_3) | instskip(NEXT) | instid1(VALU_DEP_3)
	v_dual_fmac_f32 v105, 0xbf27a4f4, v59 :: v_dual_sub_f32 v84, v84, v97
	v_add_f32_e32 v85, v88, v95
	v_dual_add_f32 v75, v75, v76 :: v_dual_add_f32 v76, v92, v77
	s_delay_alu instid0(VALU_DEP_4) | instskip(NEXT) | instid1(VALU_DEP_4)
	v_add_f32_e32 v82, v91, v90
	v_dual_add_f32 v94, v105, v98 :: v_dual_add_f32 v79, v84, v79
	s_delay_alu instid0(VALU_DEP_3) | instskip(SKIP_1) | instid1(VALU_DEP_3)
	v_dual_fmamk_f32 v84, v58, 0x3f7d64f0, v87 :: v_dual_add_f32 v75, v76, v75
	v_mul_f32_e32 v90, 0xbf27a4f4, v70
	v_add_f32_e32 v88, v106, v94
	v_mul_f32_e32 v98, 0xbf4178ce, v69
	v_mul_f32_e32 v95, 0xbf27a4f4, v73
	;; [unrolled: 1-line block ×4, first 2 shown]
	v_dual_add_f32 v81, v101, v88 :: v_dual_mul_f32 v88, 0xbf75a155, v73
	v_sub_f32_e32 v77, v83, v103
	v_dual_add_f32 v83, v17, v84 :: v_dual_mul_f32 v104, 0x3e903f40, v67
	v_mul_f32_e32 v73, 0x3ed4b147, v73
	s_delay_alu instid0(VALU_DEP_4) | instskip(NEXT) | instid1(VALU_DEP_4)
	v_fmamk_f32 v84, v57, 0xbe903f40, v88
	v_dual_mul_f32 v89, 0x3ed4b147, v74 :: v_dual_add_f32 v76, v77, v79
	v_mul_f32_e32 v74, 0xbe11bafb, v74
	v_mul_f32_e32 v92, 0x3ed4b147, v71
	s_delay_alu instid0(VALU_DEP_4) | instskip(NEXT) | instid1(VALU_DEP_4)
	v_add_f32_e32 v77, v84, v83
	v_fmamk_f32 v79, v60, 0xbf68dda4, v89
	v_dual_mul_f32 v84, 0xbf7d64f0, v65 :: v_dual_add_f32 v75, v78, v75
	v_add_f32_e32 v78, v100, v80
	v_mul_f32_e32 v100, 0xbf68dda4, v65
	s_delay_alu instid0(VALU_DEP_4) | instskip(NEXT) | instid1(VALU_DEP_3)
	v_dual_add_f32 v77, v79, v77 :: v_dual_mul_f32 v94, 0x3f68dda4, v67
	v_dual_fmamk_f32 v96, v57, 0x3f4178ce, v95 :: v_dual_add_f32 v75, v78, v75
	v_fmamk_f32 v78, v34, 0xbe11bafb, v84
	v_mul_f32_e32 v83, 0x3f575c64, v72
	v_mul_f32_e32 v72, 0xbf27a4f4, v72
	v_dual_mul_f32 v71, 0x3f575c64, v71 :: v_dual_mul_f32 v102, 0x3f575c64, v70
	s_delay_alu instid0(VALU_DEP_3) | instskip(NEXT) | instid1(VALU_DEP_3)
	v_dual_add_f32 v80, v16, v78 :: v_dual_fmamk_f32 v79, v62, 0x3f0a6770, v83
	v_fmamk_f32 v23, v62, 0x3f4178ce, v72
	v_fmamk_f32 v101, v62, 0xbf7d64f0, v99
	v_mul_f32_e32 v105, 0x3f7d64f0, v68
	v_mul_f32_e32 v65, 0xbf0a6770, v65
	v_add_f32_e32 v77, v79, v77
	v_fmamk_f32 v79, v64, 0x3f4178ce, v90
	v_dual_add_f32 v19, v25, v19 :: v_dual_fmac_f32 v88, 0x3e903f40, v57
	v_mul_f32_e32 v25, 0xbf68dda4, v66
	s_delay_alu instid0(VALU_DEP_3) | instskip(SKIP_1) | instid1(VALU_DEP_4)
	v_dual_fmac_f32 v89, 0x3f68dda4, v60 :: v_dual_add_f32 v78, v79, v77
	v_fmamk_f32 v77, v58, 0x3f68dda4, v92
	v_add_f32_e32 v19, v27, v19
	s_delay_alu instid0(VALU_DEP_4)
	v_fmamk_f32 v27, v56, 0x3ed4b147, v25
	v_fmac_f32_e32 v83, 0xbf0a6770, v62
	v_fmac_f32_e32 v99, 0x3f7d64f0, v62
	v_add_f32_e32 v77, v17, v77
	v_add_f32_e32 v19, v29, v19
	v_fmac_f32_e32 v87, 0xbf7d64f0, v58
	v_add_f32_e32 v18, v24, v18
	s_delay_alu instid0(VALU_DEP_4) | instskip(SKIP_1) | instid1(VALU_DEP_3)
	v_dual_fmamk_f32 v106, v57, 0x3f68dda4, v73 :: v_dual_add_f32 v77, v96, v77
	v_fmamk_f32 v96, v60, 0xbe903f40, v97
	v_dual_fmac_f32 v73, 0xbf68dda4, v57 :: v_dual_add_f32 v18, v26, v18
	v_mul_f32_e32 v24, 0xbf75a155, v70
	v_fmac_f32_e32 v92, 0xbf68dda4, v58
	s_delay_alu instid0(VALU_DEP_4) | instskip(NEXT) | instid1(VALU_DEP_4)
	v_dual_add_f32 v96, v96, v77 :: v_dual_mul_f32 v91, 0x3e903f40, v66
	v_add_f32_e32 v18, v28, v18
	s_delay_alu instid0(VALU_DEP_4) | instskip(SKIP_2) | instid1(VALU_DEP_4)
	v_fmamk_f32 v29, v64, 0x3e903f40, v24
	v_fmac_f32_e32 v90, 0xbf4178ce, v64
	v_fmac_f32_e32 v72, 0xbf4178ce, v62
	v_dual_fmamk_f32 v93, v56, 0xbf75a155, v91 :: v_dual_add_f32 v18, v30, v18
	v_fmac_f32_e32 v24, 0xbe903f40, v64
	s_delay_alu instid0(VALU_DEP_2) | instskip(NEXT) | instid1(VALU_DEP_3)
	v_dual_add_f32 v79, v93, v80 :: v_dual_fmamk_f32 v80, v59, 0x3ed4b147, v94
	v_dual_mul_f32 v93, 0xbf0a6770, v68 :: v_dual_add_f32 v18, v32, v18
	s_delay_alu instid0(VALU_DEP_1) | instskip(NEXT) | instid1(VALU_DEP_2)
	v_dual_add_f32 v79, v80, v79 :: v_dual_fmamk_f32 v80, v61, 0x3f575c64, v93
	v_add_f32_e32 v0, v0, v18
	s_delay_alu instid0(VALU_DEP_2) | instskip(NEXT) | instid1(VALU_DEP_2)
	v_dual_add_f32 v79, v80, v79 :: v_dual_fmamk_f32 v80, v63, 0xbf27a4f4, v98
	v_dual_add_f32 v0, v2, v0 :: v_dual_fmac_f32 v95, 0xbf4178ce, v57
	s_delay_alu instid0(VALU_DEP_2) | instskip(SKIP_4) | instid1(VALU_DEP_4)
	v_dual_add_f32 v77, v80, v79 :: v_dual_add_f32 v80, v101, v96
	v_fmamk_f32 v96, v64, 0xbf0a6770, v102
	v_fmamk_f32 v79, v34, 0x3ed4b147, v100
	v_fmac_f32_e32 v102, 0x3f0a6770, v64
	v_add_f32_e32 v0, v36, v0
	v_add_f32_e32 v80, v96, v80
	s_delay_alu instid0(VALU_DEP_4) | instskip(SKIP_1) | instid1(VALU_DEP_2)
	v_dual_fmamk_f32 v96, v58, 0x3f0a6770, v71 :: v_dual_add_f32 v79, v16, v79
	v_fmac_f32_e32 v97, 0x3e903f40, v60
	v_dual_add_f32 v96, v17, v96 :: v_dual_mul_f32 v103, 0xbf4178ce, v66
	s_delay_alu instid0(VALU_DEP_1) | instskip(SKIP_3) | instid1(VALU_DEP_3)
	v_dual_add_f32 v96, v106, v96 :: v_dual_fmamk_f32 v101, v56, 0xbf27a4f4, v103
	v_fmamk_f32 v106, v60, 0x3f7d64f0, v74
	v_fmac_f32_e32 v74, 0xbf7d64f0, v60
	v_fma_f32 v30, 0xbf27a4f4, v56, -v103
	v_dual_add_f32 v79, v101, v79 :: v_dual_add_f32 v96, v106, v96
	v_fmamk_f32 v101, v59, 0xbf75a155, v104
	s_delay_alu instid0(VALU_DEP_2) | instskip(SKIP_1) | instid1(VALU_DEP_3)
	v_dual_fmac_f32 v71, 0xbf0a6770, v58 :: v_dual_add_f32 v22, v23, v96
	v_fmamk_f32 v23, v34, 0x3f575c64, v65
	v_add_f32_e32 v79, v101, v79
	v_mul_f32_e32 v26, 0xbf7d64f0, v67
	s_delay_alu instid0(VALU_DEP_3) | instskip(NEXT) | instid1(VALU_DEP_1)
	v_add_f32_e32 v23, v16, v23
	v_add_f32_e32 v23, v27, v23
	;; [unrolled: 1-line block ×3, first 2 shown]
	v_mul_f32_e32 v107, 0x3f0a6770, v69
	v_add_f32_e32 v19, v29, v22
	v_dual_fmamk_f32 v101, v61, 0xbe11bafb, v105 :: v_dual_fmamk_f32 v28, v59, 0xbe11bafb, v26
	s_delay_alu instid0(VALU_DEP_4) | instskip(NEXT) | instid1(VALU_DEP_2)
	v_dual_mul_f32 v31, 0xbf4178ce, v68 :: v_dual_add_f32 v22, v33, v27
	v_add_f32_e32 v79, v101, v79
	v_fmamk_f32 v101, v63, 0x3f575c64, v107
	s_delay_alu instid0(VALU_DEP_4) | instskip(NEXT) | instid1(VALU_DEP_4)
	v_add_f32_e32 v23, v28, v23
	v_fmamk_f32 v27, v61, 0xbf27a4f4, v31
	v_dual_mul_f32 v28, 0xbe903f40, v69 :: v_dual_add_f32 v1, v1, v22
	s_delay_alu instid0(VALU_DEP_4) | instskip(NEXT) | instid1(VALU_DEP_3)
	v_add_f32_e32 v79, v101, v79
	v_add_f32_e32 v22, v27, v23
	s_delay_alu instid0(VALU_DEP_3) | instskip(NEXT) | instid1(VALU_DEP_4)
	v_fmamk_f32 v23, v63, 0xbf75a155, v28
	v_add_f32_e32 v1, v3, v1
	v_add_f32_e32 v3, v17, v87
	v_fma_f32 v27, 0x3f575c64, v61, -v93
	v_fma_f32 v28, 0xbf75a155, v63, -v28
	v_add_f32_e32 v18, v23, v22
	v_fma_f32 v22, 0xbe11bafb, v34, -v84
	v_dual_add_f32 v2, v88, v3 :: v_dual_add_f32 v23, v17, v92
	v_add_f32_e32 v17, v17, v71
	v_add_f32_e32 v1, v37, v1
	s_delay_alu instid0(VALU_DEP_4) | instskip(SKIP_3) | instid1(VALU_DEP_3)
	v_add_f32_e32 v3, v16, v22
	v_fma_f32 v22, 0xbf75a155, v56, -v91
	v_dual_add_f32 v2, v89, v2 :: v_dual_add_f32 v23, v95, v23
	v_add_f32_e32 v17, v73, v17
	v_add_f32_e32 v3, v22, v3
	v_fma_f32 v22, 0x3ed4b147, v59, -v94
	s_delay_alu instid0(VALU_DEP_4) | instskip(NEXT) | instid1(VALU_DEP_4)
	v_dual_add_f32 v2, v83, v2 :: v_dual_add_f32 v23, v97, v23
	v_add_f32_e32 v17, v74, v17
	s_delay_alu instid0(VALU_DEP_3) | instskip(NEXT) | instid1(VALU_DEP_3)
	v_add_f32_e32 v22, v22, v3
	v_add_f32_e32 v3, v90, v2
	v_fma_f32 v2, 0x3ed4b147, v34, -v100
	s_delay_alu instid0(VALU_DEP_3) | instskip(SKIP_1) | instid1(VALU_DEP_3)
	v_add_f32_e32 v22, v27, v22
	v_fma_f32 v27, 0xbf27a4f4, v63, -v98
	v_add_f32_e32 v29, v16, v2
	s_delay_alu instid0(VALU_DEP_2) | instskip(SKIP_2) | instid1(VALU_DEP_4)
	v_add_f32_e32 v2, v27, v22
	v_add_f32_e32 v22, v99, v23
	v_fma_f32 v23, 0x3f575c64, v34, -v65
	v_add_f32_e32 v27, v30, v29
	v_fma_f32 v29, 0xbf75a155, v59, -v104
	s_delay_alu instid0(VALU_DEP_3) | instskip(SKIP_1) | instid1(VALU_DEP_3)
	v_add_f32_e32 v16, v16, v23
	v_fma_f32 v23, 0x3ed4b147, v56, -v25
	v_add_f32_e32 v25, v29, v27
	v_fma_f32 v27, 0xbe11bafb, v61, -v105
	v_add_f32_e32 v29, v72, v17
	s_delay_alu instid0(VALU_DEP_4) | instskip(SKIP_1) | instid1(VALU_DEP_4)
	v_dual_add_f32 v17, v102, v22 :: v_dual_add_f32 v16, v23, v16
	v_fma_f32 v23, 0xbe11bafb, v59, -v26
	v_add_f32_e32 v25, v27, v25
	v_and_b32_e32 v27, 0xffff, v51
	v_fma_f32 v26, 0x3f575c64, v63, -v107
	s_delay_alu instid0(VALU_DEP_4) | instskip(SKIP_1) | instid1(VALU_DEP_4)
	v_add_f32_e32 v16, v23, v16
	v_fma_f32 v23, 0xbf27a4f4, v61, -v31
	v_lshl_add_u32 v27, v27, 3, v50
	s_delay_alu instid0(VALU_DEP_2) | instskip(SKIP_2) | instid1(VALU_DEP_3)
	v_add_f32_e32 v30, v23, v16
	v_add_f32_e32 v16, v26, v25
	;; [unrolled: 1-line block ×4, first 2 shown]
	ds_store_2addr_b64 v27, v[0:1], v[18:19] offset1:1
	ds_store_2addr_b64 v27, v[79:80], v[77:78] offset0:2 offset1:3
	ds_store_2addr_b64 v27, v[75:76], v[81:82] offset0:4 offset1:5
	;; [unrolled: 1-line block ×4, first 2 shown]
	ds_store_b64 v27, v[22:23] offset:80
.LBB0_17:
	s_wait_alu 0xfffe
	s_or_b32 exec_lo, exec_lo, s1
	global_wb scope:SCOPE_SE
	s_wait_dscnt 0x0
	s_barrier_signal -1
	s_barrier_wait -1
	global_inv scope:SCOPE_SE
	ds_load_2addr_b64 v[0:3], v53 offset1:22
	ds_load_2addr_b64 v[16:19], v53 offset0:44 offset1:66
	ds_load_2addr_b64 v[22:25], v53 offset0:88 offset1:110
	ds_load_b64 v[26:27], v53 offset:1056
	global_wb scope:SCOPE_SE
	s_wait_dscnt 0x0
	s_barrier_signal -1
	s_barrier_wait -1
	global_inv scope:SCOPE_SE
	v_dual_mul_f32 v28, v13, v3 :: v_dual_mul_f32 v29, v15, v17
	v_dual_mul_f32 v15, v15, v16 :: v_dual_mul_f32 v30, v9, v19
	v_dual_mul_f32 v31, v11, v23 :: v_dual_mul_f32 v32, v5, v25
	v_mul_f32_e32 v13, v13, v2
	s_delay_alu instid0(VALU_DEP_4) | instskip(NEXT) | instid1(VALU_DEP_4)
	v_dual_mul_f32 v33, v7, v27 :: v_dual_fmac_f32 v28, v12, v2
	v_dual_fmac_f32 v29, v14, v16 :: v_dual_fmac_f32 v30, v8, v18
	s_delay_alu instid0(VALU_DEP_4)
	v_dual_fmac_f32 v32, v4, v24 :: v_dual_mul_f32 v7, v7, v26
	v_mul_f32_e32 v11, v11, v22
	v_fma_f32 v2, v12, v3, -v13
	v_fmac_f32_e32 v33, v6, v26
	v_mul_f32_e32 v9, v9, v18
	v_sub_f32_e32 v12, v29, v32
	v_fma_f32 v6, v6, v27, -v7
	v_mul_f32_e32 v5, v5, v24
	v_fma_f32 v3, v14, v17, -v15
	v_fmac_f32_e32 v31, v10, v22
	v_fma_f32 v7, v10, v23, -v11
	v_sub_f32_e32 v10, v28, v33
	v_fma_f32 v8, v8, v19, -v9
	v_add_f32_e32 v9, v2, v6
	v_sub_f32_e32 v2, v2, v6
	v_fma_f32 v4, v4, v25, -v5
	v_dual_add_f32 v5, v28, v33 :: v_dual_add_f32 v6, v29, v32
	v_add_f32_e32 v13, v8, v7
	s_delay_alu instid0(VALU_DEP_3) | instskip(SKIP_1) | instid1(VALU_DEP_4)
	v_add_f32_e32 v11, v3, v4
	v_dual_sub_f32 v3, v3, v4 :: v_dual_add_f32 v4, v30, v31
	v_dual_sub_f32 v16, v6, v5 :: v_dual_sub_f32 v7, v7, v8
	v_add_f32_e32 v8, v6, v5
	s_delay_alu instid0(VALU_DEP_3) | instskip(NEXT) | instid1(VALU_DEP_2)
	v_dual_sub_f32 v6, v4, v6 :: v_dual_sub_f32 v5, v5, v4
	v_add_f32_e32 v4, v4, v8
	v_sub_f32_e32 v14, v31, v30
	s_delay_alu instid0(VALU_DEP_2) | instskip(NEXT) | instid1(VALU_DEP_2)
	v_dual_add_f32 v0, v0, v4 :: v_dual_add_f32 v15, v11, v9
	v_dual_add_f32 v18, v14, v12 :: v_dual_sub_f32 v17, v11, v9
	v_dual_sub_f32 v22, v14, v12 :: v_dual_sub_f32 v9, v9, v13
	v_dual_sub_f32 v12, v12, v10 :: v_dual_add_f32 v19, v7, v3
	v_dual_sub_f32 v23, v7, v3 :: v_dual_sub_f32 v14, v10, v14
	v_dual_add_f32 v8, v13, v15 :: v_dual_sub_f32 v3, v3, v2
	v_fmamk_f32 v4, v4, 0xbf955555, v0
	v_mul_f32_e32 v5, 0x3f4a47b2, v5
	v_dual_sub_f32 v11, v13, v11 :: v_dual_add_f32 v10, v18, v10
	s_delay_alu instid0(VALU_DEP_4)
	v_add_f32_e32 v1, v1, v8
	v_mul_f32_e32 v13, 0x3d64c772, v6
	v_mul_f32_e32 v18, 0x3f08b237, v22
	;; [unrolled: 1-line block ×3, first 2 shown]
	v_fmamk_f32 v6, v6, 0x3d64c772, v5
	v_dual_sub_f32 v7, v2, v7 :: v_dual_add_f32 v2, v19, v2
	v_fma_f32 v13, 0x3f3bfb3b, v16, -v13
	v_fma_f32 v5, 0xbf3bfb3b, v16, -v5
	v_fmamk_f32 v16, v14, 0xbeae86e6, v18
	v_fma_f32 v14, 0x3eae86e6, v14, -v22
	v_dual_add_f32 v22, v6, v4 :: v_dual_mul_f32 v19, 0x3f08b237, v23
	v_mul_f32_e32 v9, 0x3f4a47b2, v9
	v_fma_f32 v12, 0xbf5ff5aa, v12, -v18
	v_mul_f32_e32 v23, 0xbf5ff5aa, v3
	v_fmamk_f32 v8, v8, 0xbf955555, v1
	v_fma_f32 v18, 0xbf5ff5aa, v3, -v19
	v_fmac_f32_e32 v14, 0xbee1c552, v10
	v_fmac_f32_e32 v12, 0xbee1c552, v10
	s_delay_alu instid0(VALU_DEP_3) | instskip(SKIP_3) | instid1(VALU_DEP_3)
	v_fmac_f32_e32 v18, 0xbee1c552, v2
	v_mul_f32_e32 v15, 0x3d64c772, v11
	v_fmamk_f32 v11, v11, 0x3d64c772, v9
	v_fma_f32 v9, 0xbf3bfb3b, v17, -v9
	v_fma_f32 v15, 0x3f3bfb3b, v17, -v15
	v_fmamk_f32 v17, v7, 0xbeae86e6, v19
	v_fma_f32 v19, 0x3eae86e6, v7, -v23
	v_dual_add_f32 v23, v11, v8 :: v_dual_fmac_f32 v16, 0xbee1c552, v10
	v_add_f32_e32 v11, v13, v4
	v_add_f32_e32 v13, v15, v8
	;; [unrolled: 1-line block ×4, first 2 shown]
	v_sub_f32_e32 v3, v23, v16
	v_dual_fmac_f32 v19, 0xbee1c552, v2 :: v_dual_add_f32 v8, v18, v11
	v_fmac_f32_e32 v17, 0xbee1c552, v2
	s_delay_alu instid0(VALU_DEP_4) | instskip(SKIP_1) | instid1(VALU_DEP_4)
	v_sub_f32_e32 v5, v24, v14
	v_sub_f32_e32 v6, v11, v18
	;; [unrolled: 1-line block ×3, first 2 shown]
	v_add_f32_e32 v4, v19, v15
	v_dual_add_f32 v2, v17, v22 :: v_dual_add_f32 v7, v12, v13
	v_dual_sub_f32 v9, v13, v12 :: v_dual_add_nc_u32 v12, 0x160, v55
	v_add_f32_e32 v11, v14, v24
	v_dual_sub_f32 v18, v22, v17 :: v_dual_add_f32 v19, v16, v23
	ds_store_2addr_b64 v54, v[0:1], v[2:3] offset1:11
	ds_store_2addr_b64 v54, v[4:5], v[6:7] offset0:22 offset1:33
	ds_store_2addr_b64 v54, v[8:9], v[10:11] offset0:44 offset1:55
	ds_store_b64 v54, v[18:19] offset:528
	global_wb scope:SCOPE_SE
	s_wait_dscnt 0x0
	s_barrier_signal -1
	s_barrier_wait -1
	global_inv scope:SCOPE_SE
	ds_load_2addr_b64 v[0:3], v53 offset1:22
	ds_load_2addr_b64 v[4:7], v53 offset0:44 offset1:77
	ds_load_2addr_b64 v[8:11], v53 offset0:99 offset1:121
	s_and_saveexec_b32 s1, s0
	s_cbranch_execz .LBB0_19
; %bb.18:
	ds_load_2addr_b64 v[18:21], v53 offset0:66 offset1:143
.LBB0_19:
	s_wait_alu 0xfffe
	s_or_b32 exec_lo, exec_lo, s1
	s_wait_dscnt 0x0
	v_dual_mul_f32 v13, v41, v7 :: v_dual_mul_f32 v22, v43, v10
	v_dual_mul_f32 v14, v41, v6 :: v_dual_mul_f32 v17, v43, v11
	v_mul_f32_e32 v15, v45, v9
	s_delay_alu instid0(VALU_DEP_3) | instskip(NEXT) | instid1(VALU_DEP_3)
	v_dual_mul_f32 v16, v45, v8 :: v_dual_fmac_f32 v13, v40, v6
	v_fma_f32 v7, v40, v7, -v14
	v_fma_f32 v11, v42, v11, -v22
	s_delay_alu instid0(VALU_DEP_4) | instskip(NEXT) | instid1(VALU_DEP_4)
	v_fmac_f32_e32 v15, v44, v8
	v_fma_f32 v9, v44, v9, -v16
	v_dual_sub_f32 v6, v0, v13 :: v_dual_fmac_f32 v17, v42, v10
	v_sub_f32_e32 v7, v1, v7
	s_delay_alu instid0(VALU_DEP_3) | instskip(NEXT) | instid1(VALU_DEP_3)
	v_dual_sub_f32 v8, v2, v15 :: v_dual_sub_f32 v9, v3, v9
	v_dual_sub_f32 v11, v5, v11 :: v_dual_sub_f32 v10, v4, v17
	s_delay_alu instid0(VALU_DEP_4) | instskip(NEXT) | instid1(VALU_DEP_4)
	v_fma_f32 v0, v0, 2.0, -v6
	v_fma_f32 v1, v1, 2.0, -v7
	s_delay_alu instid0(VALU_DEP_4)
	v_fma_f32 v2, v2, 2.0, -v8
	v_fma_f32 v3, v3, 2.0, -v9
	;; [unrolled: 1-line block ×4, first 2 shown]
	ds_store_2addr_b64 v52, v[0:1], v[2:3] offset1:22
	ds_store_b64 v52, v[8:9] offset:792
	ds_store_2addr_b64 v52, v[4:5], v[6:7] offset0:44 offset1:77
	ds_store_b64 v12, v[10:11] offset:616
	s_and_saveexec_b32 s1, s0
	s_cbranch_execz .LBB0_21
; %bb.20:
	v_mul_f32_e32 v0, v39, v20
	v_mul_f32_e32 v2, v39, v21
	s_delay_alu instid0(VALU_DEP_2) | instskip(NEXT) | instid1(VALU_DEP_2)
	v_fma_f32 v0, v38, v21, -v0
	v_fmac_f32_e32 v2, v38, v20
	s_delay_alu instid0(VALU_DEP_1) | instskip(NEXT) | instid1(VALU_DEP_1)
	v_dual_sub_f32 v1, v19, v0 :: v_dual_sub_f32 v0, v18, v2
	v_fma_f32 v3, v19, 2.0, -v1
	s_delay_alu instid0(VALU_DEP_2)
	v_fma_f32 v2, v18, 2.0, -v0
	ds_store_2addr_b64 v52, v[2:3], v[0:1] offset0:66 offset1:143
.LBB0_21:
	s_wait_alu 0xfffe
	s_or_b32 exec_lo, exec_lo, s1
	global_wb scope:SCOPE_SE
	s_wait_dscnt 0x0
	s_barrier_signal -1
	s_barrier_wait -1
	global_inv scope:SCOPE_SE
	s_and_b32 exec_lo, exec_lo, vcc_lo
	s_cbranch_execz .LBB0_23
; %bb.22:
	s_clause 0xa
	global_load_b64 v[20:21], v49, s[12:13]
	global_load_b64 v[22:23], v49, s[12:13] offset:112
	global_load_b64 v[24:25], v49, s[12:13] offset:224
	;; [unrolled: 1-line block ×10, first 2 shown]
	v_mad_co_u64_u32 v[8:9], null, s4, v48, 0
	v_mad_co_u64_u32 v[0:1], null, s6, v35, 0
	v_lshl_add_u32 v16, v47, 3, v49
	s_mov_b32 s2, 0x606a63be
	s_mov_b32 s3, 0x3f7a98ef
	s_mul_u64 s[0:1], s[4:5], 0x70
	s_delay_alu instid0(VALU_DEP_3) | instskip(NEXT) | instid1(VALU_DEP_1)
	v_mov_b32_e32 v2, v9
	v_mad_co_u64_u32 v[3:4], null, s7, v35, v[1:2]
	ds_load_b64 v[34:35], v52
	v_mov_b32_e32 v1, v3
	v_mad_co_u64_u32 v[4:5], null, s5, v48, v[2:3]
	s_delay_alu instid0(VALU_DEP_2) | instskip(NEXT) | instid1(VALU_DEP_2)
	v_lshlrev_b64_e32 v[10:11], 3, v[0:1]
	v_mov_b32_e32 v9, v4
	ds_load_2addr_b64 v[0:3], v16 offset0:14 offset1:28
	ds_load_2addr_b64 v[4:7], v16 offset0:42 offset1:56
	v_add_co_u32 v65, vcc_lo, s8, v10
	v_add_co_ci_u32_e32 v66, vcc_lo, s9, v11, vcc_lo
	s_wait_loadcnt_dscnt 0x901
	v_dual_mul_f32 v51, v35, v21 :: v_dual_mul_f32 v52, v1, v23
	v_lshlrev_b64_e32 v[12:13], 3, v[8:9]
	s_wait_loadcnt_dscnt 0x700
	v_mul_f32_e32 v54, v5, v27
	ds_load_2addr_b64 v[8:11], v16 offset0:70 offset1:84
	v_mul_f32_e32 v21, v34, v21
	v_dual_mul_f32 v53, v3, v25 :: v_dual_fmac_f32 v52, v0, v22
	v_add_co_u32 v44, vcc_lo, v65, v12
	s_wait_alu 0xfffd
	v_add_co_ci_u32_e32 v45, vcc_lo, v66, v13, vcc_lo
	ds_load_2addr_b64 v[12:15], v16 offset0:98 offset1:112
	ds_load_2addr_b64 v[16:19], v16 offset0:126 offset1:140
	v_mul_f32_e32 v23, v0, v23
	v_dual_mul_f32 v25, v2, v25 :: v_dual_fmac_f32 v54, v4, v26
	v_mul_f32_e32 v27, v4, v27
	v_fmac_f32_e32 v51, v34, v20
	v_fmac_f32_e32 v53, v2, v24
	s_wait_alu 0xfffe
	v_add_co_u32 v47, vcc_lo, v44, s0
	s_wait_alu 0xfffd
	v_add_co_ci_u32_e32 v48, vcc_lo, s1, v45, vcc_lo
	s_wait_loadcnt_dscnt 0x502
	v_dual_mul_f32 v56, v9, v31 :: v_dual_mul_f32 v55, v7, v29
	v_mul_f32_e32 v31, v8, v31
	v_fma_f32 v20, v20, v35, -v21
	v_add_co_u32 v49, vcc_lo, v47, s0
	s_delay_alu instid0(VALU_DEP_4)
	v_dual_fmac_f32 v56, v8, v30 :: v_dual_fmac_f32 v55, v6, v28
	s_wait_loadcnt_dscnt 0x301
	v_mul_f32_e32 v58, v13, v37
	v_mul_f32_e32 v29, v6, v29
	s_wait_loadcnt_dscnt 0x100
	v_mul_f32_e32 v60, v17, v41
	v_mul_f32_e32 v57, v11, v33
	;; [unrolled: 1-line block ×3, first 2 shown]
	v_fma_f32 v21, v22, v1, -v23
	v_mul_f32_e32 v37, v12, v37
	v_fma_f32 v22, v24, v3, -v25
	v_mul_f32_e32 v59, v15, v39
	v_mul_f32_e32 v39, v14, v39
	v_fma_f32 v23, v26, v5, -v27
	v_mul_f32_e32 v41, v16, v41
	s_wait_loadcnt 0x0
	v_mul_f32_e32 v61, v19, v43
	v_dual_mul_f32 v43, v18, v43 :: v_dual_fmac_f32 v58, v12, v36
	v_fma_f32 v24, v28, v7, -v29
	v_fma_f32 v25, v30, v9, -v31
	v_cvt_f64_f32_e32 v[0:1], v51
	v_cvt_f64_f32_e32 v[2:3], v20
	v_fma_f32 v26, v32, v11, -v33
	v_fmac_f32_e32 v60, v16, v40
	v_fmac_f32_e32 v57, v10, v32
	v_cvt_f64_f32_e32 v[4:5], v52
	v_cvt_f64_f32_e32 v[6:7], v21
	v_fma_f32 v30, v36, v13, -v37
	v_cvt_f64_f32_e32 v[8:9], v53
	v_cvt_f64_f32_e32 v[10:11], v22
	v_fmac_f32_e32 v59, v14, v38
	v_fma_f32 v34, v38, v15, -v39
	v_cvt_f64_f32_e32 v[12:13], v54
	v_cvt_f64_f32_e32 v[14:15], v23
	v_fma_f32 v38, v40, v17, -v41
	v_fmac_f32_e32 v61, v18, v42
	v_fma_f32 v42, v42, v19, -v43
	v_cvt_f64_f32_e32 v[16:17], v55
	v_cvt_f64_f32_e32 v[18:19], v24
	;; [unrolled: 1-line block ×14, first 2 shown]
	s_wait_alu 0xfffd
	v_add_co_ci_u32_e32 v50, vcc_lo, s1, v48, vcc_lo
	v_add_co_u32 v51, vcc_lo, v49, s0
	v_mad_co_u64_u32 v[57:58], null, s4, v46, 0
	s_wait_alu 0xfffd
	s_delay_alu instid0(VALU_DEP_3)
	v_add_co_ci_u32_e32 v52, vcc_lo, s1, v50, vcc_lo
	v_mul_f64_e32 v[0:1], s[2:3], v[0:1]
	v_mul_f64_e32 v[2:3], s[2:3], v[2:3]
	v_add_co_u32 v53, vcc_lo, v51, s0
	v_mul_f64_e32 v[4:5], s[2:3], v[4:5]
	v_mul_f64_e32 v[6:7], s[2:3], v[6:7]
	s_wait_alu 0xfffd
	v_add_co_ci_u32_e32 v54, vcc_lo, s1, v52, vcc_lo
	v_mul_f64_e32 v[8:9], s[2:3], v[8:9]
	v_mul_f64_e32 v[10:11], s[2:3], v[10:11]
	v_add_co_u32 v55, vcc_lo, v53, s0
	v_mul_f64_e32 v[12:13], s[2:3], v[12:13]
	v_mul_f64_e32 v[14:15], s[2:3], v[14:15]
	s_wait_alu 0xfffd
	v_add_co_ci_u32_e32 v56, vcc_lo, s1, v54, vcc_lo
	v_mul_f64_e32 v[16:17], s[2:3], v[16:17]
	v_mul_f64_e32 v[18:19], s[2:3], v[18:19]
	;; [unrolled: 1-line block ×14, first 2 shown]
	v_add_co_u32 v59, vcc_lo, v55, s0
	s_wait_alu 0xfffd
	v_add_co_ci_u32_e32 v60, vcc_lo, s1, v56, vcc_lo
	s_delay_alu instid0(VALU_DEP_2) | instskip(SKIP_1) | instid1(VALU_DEP_2)
	v_add_co_u32 v61, vcc_lo, v59, s0
	s_wait_alu 0xfffd
	v_add_co_ci_u32_e32 v62, vcc_lo, s1, v60, vcc_lo
	v_cvt_f32_f64_e32 v0, v[0:1]
	v_cvt_f32_f64_e32 v1, v[2:3]
	;; [unrolled: 1-line block ×4, first 2 shown]
	v_mad_co_u64_u32 v[63:64], null, 0xe0, s4, v[61:62]
	v_cvt_f32_f64_e32 v4, v[8:9]
	v_cvt_f32_f64_e32 v5, v[10:11]
	;; [unrolled: 1-line block ×18, first 2 shown]
	v_mad_co_u64_u32 v[22:23], null, s5, v46, v[58:59]
	s_delay_alu instid0(VALU_DEP_1) | instskip(NEXT) | instid1(VALU_DEP_1)
	v_dual_mov_b32 v23, v64 :: v_dual_mov_b32 v58, v22
	v_mad_co_u64_u32 v[22:23], null, 0xe0, s5, v[23:24]
	s_delay_alu instid0(VALU_DEP_2) | instskip(NEXT) | instid1(VALU_DEP_2)
	v_lshlrev_b64_e32 v[23:24], 3, v[57:58]
	v_mov_b32_e32 v64, v22
	s_delay_alu instid0(VALU_DEP_2) | instskip(SKIP_1) | instid1(VALU_DEP_3)
	v_add_co_u32 v22, vcc_lo, v65, v23
	s_wait_alu 0xfffd
	v_add_co_ci_u32_e32 v23, vcc_lo, v66, v24, vcc_lo
	v_add_co_u32 v24, vcc_lo, v63, s0
	s_wait_alu 0xfffd
	v_add_co_ci_u32_e32 v25, vcc_lo, s1, v64, vcc_lo
	s_clause 0x4
	global_store_b64 v[44:45], v[0:1], off
	global_store_b64 v[47:48], v[2:3], off
	;; [unrolled: 1-line block ×11, first 2 shown]
.LBB0_23:
	s_nop 0
	s_sendmsg sendmsg(MSG_DEALLOC_VGPRS)
	s_endpgm
	.section	.rodata,"a",@progbits
	.p2align	6, 0x0
	.amdhsa_kernel bluestein_single_back_len154_dim1_sp_op_CI_CI
		.amdhsa_group_segment_fixed_size 6160
		.amdhsa_private_segment_fixed_size 0
		.amdhsa_kernarg_size 104
		.amdhsa_user_sgpr_count 2
		.amdhsa_user_sgpr_dispatch_ptr 0
		.amdhsa_user_sgpr_queue_ptr 0
		.amdhsa_user_sgpr_kernarg_segment_ptr 1
		.amdhsa_user_sgpr_dispatch_id 0
		.amdhsa_user_sgpr_private_segment_size 0
		.amdhsa_wavefront_size32 1
		.amdhsa_uses_dynamic_stack 0
		.amdhsa_enable_private_segment 0
		.amdhsa_system_sgpr_workgroup_id_x 1
		.amdhsa_system_sgpr_workgroup_id_y 0
		.amdhsa_system_sgpr_workgroup_id_z 0
		.amdhsa_system_sgpr_workgroup_info 0
		.amdhsa_system_vgpr_workitem_id 0
		.amdhsa_next_free_vgpr 121
		.amdhsa_next_free_sgpr 14
		.amdhsa_reserve_vcc 1
		.amdhsa_float_round_mode_32 0
		.amdhsa_float_round_mode_16_64 0
		.amdhsa_float_denorm_mode_32 3
		.amdhsa_float_denorm_mode_16_64 3
		.amdhsa_fp16_overflow 0
		.amdhsa_workgroup_processor_mode 1
		.amdhsa_memory_ordered 1
		.amdhsa_forward_progress 0
		.amdhsa_round_robin_scheduling 0
		.amdhsa_exception_fp_ieee_invalid_op 0
		.amdhsa_exception_fp_denorm_src 0
		.amdhsa_exception_fp_ieee_div_zero 0
		.amdhsa_exception_fp_ieee_overflow 0
		.amdhsa_exception_fp_ieee_underflow 0
		.amdhsa_exception_fp_ieee_inexact 0
		.amdhsa_exception_int_div_zero 0
	.end_amdhsa_kernel
	.text
.Lfunc_end0:
	.size	bluestein_single_back_len154_dim1_sp_op_CI_CI, .Lfunc_end0-bluestein_single_back_len154_dim1_sp_op_CI_CI
                                        ; -- End function
	.section	.AMDGPU.csdata,"",@progbits
; Kernel info:
; codeLenInByte = 10260
; NumSgprs: 16
; NumVgprs: 121
; ScratchSize: 0
; MemoryBound: 0
; FloatMode: 240
; IeeeMode: 1
; LDSByteSize: 6160 bytes/workgroup (compile time only)
; SGPRBlocks: 1
; VGPRBlocks: 15
; NumSGPRsForWavesPerEU: 16
; NumVGPRsForWavesPerEU: 121
; Occupancy: 10
; WaveLimiterHint : 1
; COMPUTE_PGM_RSRC2:SCRATCH_EN: 0
; COMPUTE_PGM_RSRC2:USER_SGPR: 2
; COMPUTE_PGM_RSRC2:TRAP_HANDLER: 0
; COMPUTE_PGM_RSRC2:TGID_X_EN: 1
; COMPUTE_PGM_RSRC2:TGID_Y_EN: 0
; COMPUTE_PGM_RSRC2:TGID_Z_EN: 0
; COMPUTE_PGM_RSRC2:TIDIG_COMP_CNT: 0
	.text
	.p2alignl 7, 3214868480
	.fill 96, 4, 3214868480
	.type	__hip_cuid_68eb43e2a07f48f1,@object ; @__hip_cuid_68eb43e2a07f48f1
	.section	.bss,"aw",@nobits
	.globl	__hip_cuid_68eb43e2a07f48f1
__hip_cuid_68eb43e2a07f48f1:
	.byte	0                               ; 0x0
	.size	__hip_cuid_68eb43e2a07f48f1, 1

	.ident	"AMD clang version 19.0.0git (https://github.com/RadeonOpenCompute/llvm-project roc-6.4.0 25133 c7fe45cf4b819c5991fe208aaa96edf142730f1d)"
	.section	".note.GNU-stack","",@progbits
	.addrsig
	.addrsig_sym __hip_cuid_68eb43e2a07f48f1
	.amdgpu_metadata
---
amdhsa.kernels:
  - .args:
      - .actual_access:  read_only
        .address_space:  global
        .offset:         0
        .size:           8
        .value_kind:     global_buffer
      - .actual_access:  read_only
        .address_space:  global
        .offset:         8
        .size:           8
        .value_kind:     global_buffer
      - .actual_access:  read_only
        .address_space:  global
        .offset:         16
        .size:           8
        .value_kind:     global_buffer
      - .actual_access:  read_only
        .address_space:  global
        .offset:         24
        .size:           8
        .value_kind:     global_buffer
      - .actual_access:  read_only
        .address_space:  global
        .offset:         32
        .size:           8
        .value_kind:     global_buffer
      - .offset:         40
        .size:           8
        .value_kind:     by_value
      - .address_space:  global
        .offset:         48
        .size:           8
        .value_kind:     global_buffer
      - .address_space:  global
        .offset:         56
        .size:           8
        .value_kind:     global_buffer
      - .address_space:  global
        .offset:         64
        .size:           8
        .value_kind:     global_buffer
      - .address_space:  global
        .offset:         72
        .size:           8
        .value_kind:     global_buffer
      - .offset:         80
        .size:           4
        .value_kind:     by_value
      - .address_space:  global
        .offset:         88
        .size:           8
        .value_kind:     global_buffer
      - .address_space:  global
        .offset:         96
        .size:           8
        .value_kind:     global_buffer
    .group_segment_fixed_size: 6160
    .kernarg_segment_align: 8
    .kernarg_segment_size: 104
    .language:       OpenCL C
    .language_version:
      - 2
      - 0
    .max_flat_workgroup_size: 110
    .name:           bluestein_single_back_len154_dim1_sp_op_CI_CI
    .private_segment_fixed_size: 0
    .sgpr_count:     16
    .sgpr_spill_count: 0
    .symbol:         bluestein_single_back_len154_dim1_sp_op_CI_CI.kd
    .uniform_work_group_size: 1
    .uses_dynamic_stack: false
    .vgpr_count:     121
    .vgpr_spill_count: 0
    .wavefront_size: 32
    .workgroup_processor_mode: 1
amdhsa.target:   amdgcn-amd-amdhsa--gfx1201
amdhsa.version:
  - 1
  - 2
...

	.end_amdgpu_metadata
